;; amdgpu-corpus repo=ROCm/rocFFT kind=compiled arch=gfx906 opt=O3
	.text
	.amdgcn_target "amdgcn-amd-amdhsa--gfx906"
	.amdhsa_code_object_version 6
	.protected	fft_rtc_back_len1008_factors_2_2_2_2_3_3_7_wgs_56_tpt_56_halfLds_sp_ip_CI_unitstride_sbrr_R2C_dirReg ; -- Begin function fft_rtc_back_len1008_factors_2_2_2_2_3_3_7_wgs_56_tpt_56_halfLds_sp_ip_CI_unitstride_sbrr_R2C_dirReg
	.globl	fft_rtc_back_len1008_factors_2_2_2_2_3_3_7_wgs_56_tpt_56_halfLds_sp_ip_CI_unitstride_sbrr_R2C_dirReg
	.p2align	8
	.type	fft_rtc_back_len1008_factors_2_2_2_2_3_3_7_wgs_56_tpt_56_halfLds_sp_ip_CI_unitstride_sbrr_R2C_dirReg,@function
fft_rtc_back_len1008_factors_2_2_2_2_3_3_7_wgs_56_tpt_56_halfLds_sp_ip_CI_unitstride_sbrr_R2C_dirReg: ; @fft_rtc_back_len1008_factors_2_2_2_2_3_3_7_wgs_56_tpt_56_halfLds_sp_ip_CI_unitstride_sbrr_R2C_dirReg
; %bb.0:
	s_load_dwordx2 s[12:13], s[4:5], 0x50
	s_load_dwordx4 s[8:11], s[4:5], 0x0
	s_load_dwordx2 s[2:3], s[4:5], 0x18
	v_mul_u32_u24_e32 v1, 0x493, v0
	v_add_u32_sdwa v5, s6, v1 dst_sel:DWORD dst_unused:UNUSED_PAD src0_sel:DWORD src1_sel:WORD_1
	v_mov_b32_e32 v3, 0
	s_waitcnt lgkmcnt(0)
	v_cmp_lt_u64_e64 s[0:1], s[10:11], 2
	v_mov_b32_e32 v1, 0
	v_mov_b32_e32 v6, v3
	s_and_b64 vcc, exec, s[0:1]
	v_mov_b32_e32 v2, 0
	s_cbranch_vccnz .LBB0_8
; %bb.1:
	s_load_dwordx2 s[0:1], s[4:5], 0x10
	s_add_u32 s6, s2, 8
	s_addc_u32 s7, s3, 0
	v_mov_b32_e32 v1, 0
	v_mov_b32_e32 v2, 0
	s_waitcnt lgkmcnt(0)
	s_add_u32 s14, s0, 8
	s_addc_u32 s15, s1, 0
	s_mov_b64 s[16:17], 1
.LBB0_2:                                ; =>This Inner Loop Header: Depth=1
	s_load_dwordx2 s[18:19], s[14:15], 0x0
                                        ; implicit-def: $vgpr7_vgpr8
	s_waitcnt lgkmcnt(0)
	v_or_b32_e32 v4, s19, v6
	v_cmp_ne_u64_e32 vcc, 0, v[3:4]
	s_and_saveexec_b64 s[0:1], vcc
	s_xor_b64 s[20:21], exec, s[0:1]
	s_cbranch_execz .LBB0_4
; %bb.3:                                ;   in Loop: Header=BB0_2 Depth=1
	v_cvt_f32_u32_e32 v4, s18
	v_cvt_f32_u32_e32 v7, s19
	s_sub_u32 s0, 0, s18
	s_subb_u32 s1, 0, s19
	v_mac_f32_e32 v4, 0x4f800000, v7
	v_rcp_f32_e32 v4, v4
	v_mul_f32_e32 v4, 0x5f7ffffc, v4
	v_mul_f32_e32 v7, 0x2f800000, v4
	v_trunc_f32_e32 v7, v7
	v_mac_f32_e32 v4, 0xcf800000, v7
	v_cvt_u32_f32_e32 v7, v7
	v_cvt_u32_f32_e32 v4, v4
	v_mul_lo_u32 v8, s0, v7
	v_mul_hi_u32 v9, s0, v4
	v_mul_lo_u32 v11, s1, v4
	v_mul_lo_u32 v10, s0, v4
	v_add_u32_e32 v8, v9, v8
	v_add_u32_e32 v8, v8, v11
	v_mul_hi_u32 v9, v4, v10
	v_mul_lo_u32 v11, v4, v8
	v_mul_hi_u32 v13, v4, v8
	v_mul_hi_u32 v12, v7, v10
	v_mul_lo_u32 v10, v7, v10
	v_mul_hi_u32 v14, v7, v8
	v_add_co_u32_e32 v9, vcc, v9, v11
	v_addc_co_u32_e32 v11, vcc, 0, v13, vcc
	v_mul_lo_u32 v8, v7, v8
	v_add_co_u32_e32 v9, vcc, v9, v10
	v_addc_co_u32_e32 v9, vcc, v11, v12, vcc
	v_addc_co_u32_e32 v10, vcc, 0, v14, vcc
	v_add_co_u32_e32 v8, vcc, v9, v8
	v_addc_co_u32_e32 v9, vcc, 0, v10, vcc
	v_add_co_u32_e32 v4, vcc, v4, v8
	v_addc_co_u32_e32 v7, vcc, v7, v9, vcc
	v_mul_lo_u32 v8, s0, v7
	v_mul_hi_u32 v9, s0, v4
	v_mul_lo_u32 v10, s1, v4
	v_mul_lo_u32 v11, s0, v4
	v_add_u32_e32 v8, v9, v8
	v_add_u32_e32 v8, v8, v10
	v_mul_lo_u32 v12, v4, v8
	v_mul_hi_u32 v13, v4, v11
	v_mul_hi_u32 v14, v4, v8
	;; [unrolled: 1-line block ×3, first 2 shown]
	v_mul_lo_u32 v11, v7, v11
	v_mul_hi_u32 v9, v7, v8
	v_add_co_u32_e32 v12, vcc, v13, v12
	v_addc_co_u32_e32 v13, vcc, 0, v14, vcc
	v_mul_lo_u32 v8, v7, v8
	v_add_co_u32_e32 v11, vcc, v12, v11
	v_addc_co_u32_e32 v10, vcc, v13, v10, vcc
	v_addc_co_u32_e32 v9, vcc, 0, v9, vcc
	v_add_co_u32_e32 v8, vcc, v10, v8
	v_addc_co_u32_e32 v9, vcc, 0, v9, vcc
	v_add_co_u32_e32 v4, vcc, v4, v8
	v_addc_co_u32_e32 v9, vcc, v7, v9, vcc
	v_mad_u64_u32 v[7:8], s[0:1], v5, v9, 0
	v_mul_hi_u32 v10, v5, v4
	v_add_co_u32_e32 v11, vcc, v10, v7
	v_addc_co_u32_e32 v12, vcc, 0, v8, vcc
	v_mad_u64_u32 v[7:8], s[0:1], v6, v4, 0
	v_mad_u64_u32 v[9:10], s[0:1], v6, v9, 0
	v_add_co_u32_e32 v4, vcc, v11, v7
	v_addc_co_u32_e32 v4, vcc, v12, v8, vcc
	v_addc_co_u32_e32 v7, vcc, 0, v10, vcc
	v_add_co_u32_e32 v4, vcc, v4, v9
	v_addc_co_u32_e32 v9, vcc, 0, v7, vcc
	v_mul_lo_u32 v10, s19, v4
	v_mul_lo_u32 v11, s18, v9
	v_mad_u64_u32 v[7:8], s[0:1], s18, v4, 0
	v_add3_u32 v8, v8, v11, v10
	v_sub_u32_e32 v10, v6, v8
	v_mov_b32_e32 v11, s19
	v_sub_co_u32_e32 v7, vcc, v5, v7
	v_subb_co_u32_e64 v10, s[0:1], v10, v11, vcc
	v_subrev_co_u32_e64 v11, s[0:1], s18, v7
	v_subbrev_co_u32_e64 v10, s[0:1], 0, v10, s[0:1]
	v_cmp_le_u32_e64 s[0:1], s19, v10
	v_cndmask_b32_e64 v12, 0, -1, s[0:1]
	v_cmp_le_u32_e64 s[0:1], s18, v11
	v_cndmask_b32_e64 v11, 0, -1, s[0:1]
	v_cmp_eq_u32_e64 s[0:1], s19, v10
	v_cndmask_b32_e64 v10, v12, v11, s[0:1]
	v_add_co_u32_e64 v11, s[0:1], 2, v4
	v_addc_co_u32_e64 v12, s[0:1], 0, v9, s[0:1]
	v_add_co_u32_e64 v13, s[0:1], 1, v4
	v_addc_co_u32_e64 v14, s[0:1], 0, v9, s[0:1]
	v_subb_co_u32_e32 v8, vcc, v6, v8, vcc
	v_cmp_ne_u32_e64 s[0:1], 0, v10
	v_cmp_le_u32_e32 vcc, s19, v8
	v_cndmask_b32_e64 v10, v14, v12, s[0:1]
	v_cndmask_b32_e64 v12, 0, -1, vcc
	v_cmp_le_u32_e32 vcc, s18, v7
	v_cndmask_b32_e64 v7, 0, -1, vcc
	v_cmp_eq_u32_e32 vcc, s19, v8
	v_cndmask_b32_e32 v7, v12, v7, vcc
	v_cmp_ne_u32_e32 vcc, 0, v7
	v_cndmask_b32_e64 v7, v13, v11, s[0:1]
	v_cndmask_b32_e32 v8, v9, v10, vcc
	v_cndmask_b32_e32 v7, v4, v7, vcc
.LBB0_4:                                ;   in Loop: Header=BB0_2 Depth=1
	s_andn2_saveexec_b64 s[0:1], s[20:21]
	s_cbranch_execz .LBB0_6
; %bb.5:                                ;   in Loop: Header=BB0_2 Depth=1
	v_cvt_f32_u32_e32 v4, s18
	s_sub_i32 s20, 0, s18
	v_rcp_iflag_f32_e32 v4, v4
	v_mul_f32_e32 v4, 0x4f7ffffe, v4
	v_cvt_u32_f32_e32 v4, v4
	v_mul_lo_u32 v7, s20, v4
	v_mul_hi_u32 v7, v4, v7
	v_add_u32_e32 v4, v4, v7
	v_mul_hi_u32 v4, v5, v4
	v_mul_lo_u32 v7, v4, s18
	v_add_u32_e32 v8, 1, v4
	v_sub_u32_e32 v7, v5, v7
	v_subrev_u32_e32 v9, s18, v7
	v_cmp_le_u32_e32 vcc, s18, v7
	v_cndmask_b32_e32 v7, v7, v9, vcc
	v_cndmask_b32_e32 v4, v4, v8, vcc
	v_add_u32_e32 v8, 1, v4
	v_cmp_le_u32_e32 vcc, s18, v7
	v_cndmask_b32_e32 v7, v4, v8, vcc
	v_mov_b32_e32 v8, v3
.LBB0_6:                                ;   in Loop: Header=BB0_2 Depth=1
	s_or_b64 exec, exec, s[0:1]
	v_mul_lo_u32 v4, v8, s18
	v_mul_lo_u32 v11, v7, s19
	v_mad_u64_u32 v[9:10], s[0:1], v7, s18, 0
	s_load_dwordx2 s[0:1], s[6:7], 0x0
	s_add_u32 s16, s16, 1
	v_add3_u32 v4, v10, v11, v4
	v_sub_co_u32_e32 v5, vcc, v5, v9
	v_subb_co_u32_e32 v4, vcc, v6, v4, vcc
	s_waitcnt lgkmcnt(0)
	v_mul_lo_u32 v4, s0, v4
	v_mul_lo_u32 v6, s1, v5
	v_mad_u64_u32 v[1:2], s[0:1], s0, v5, v[1:2]
	s_addc_u32 s17, s17, 0
	s_add_u32 s6, s6, 8
	v_add3_u32 v2, v6, v2, v4
	v_mov_b32_e32 v4, s10
	v_mov_b32_e32 v5, s11
	s_addc_u32 s7, s7, 0
	v_cmp_ge_u64_e32 vcc, s[16:17], v[4:5]
	s_add_u32 s14, s14, 8
	s_addc_u32 s15, s15, 0
	s_cbranch_vccnz .LBB0_9
; %bb.7:                                ;   in Loop: Header=BB0_2 Depth=1
	v_mov_b32_e32 v5, v7
	v_mov_b32_e32 v6, v8
	s_branch .LBB0_2
.LBB0_8:
	v_mov_b32_e32 v8, v6
	v_mov_b32_e32 v7, v5
.LBB0_9:
	s_lshl_b64 s[0:1], s[10:11], 3
	s_add_u32 s0, s2, s0
	s_addc_u32 s1, s3, s1
	s_load_dwordx2 s[2:3], s[0:1], 0x0
	s_load_dwordx2 s[6:7], s[4:5], 0x20
                                        ; implicit-def: $vgpr49
                                        ; implicit-def: $vgpr48
                                        ; implicit-def: $vgpr47
                                        ; implicit-def: $vgpr46
                                        ; implicit-def: $vgpr44
                                        ; implicit-def: $vgpr43
                                        ; implicit-def: $vgpr42
	s_waitcnt lgkmcnt(0)
	v_mad_u64_u32 v[1:2], s[0:1], s2, v7, v[1:2]
	s_mov_b32 s0, 0x4924925
	v_mul_lo_u32 v3, s2, v8
	v_mul_lo_u32 v4, s3, v7
	v_mul_hi_u32 v5, v0, s0
	v_cmp_gt_u64_e32 vcc, s[6:7], v[7:8]
	v_cmp_le_u64_e64 s[0:1], s[6:7], v[7:8]
	v_add3_u32 v2, v4, v2, v3
	v_mul_u32_u24_e32 v3, 56, v5
	v_sub_u32_e32 v36, v0, v3
	v_add_u32_e32 v38, 56, v36
	s_and_saveexec_b64 s[2:3], s[0:1]
	s_xor_b64 s[0:1], exec, s[2:3]
; %bb.10:
	v_add_u32_e32 v38, 56, v36
	v_add_u32_e32 v49, 0x70, v36
	;; [unrolled: 1-line block ×7, first 2 shown]
	v_or_b32_e32 v42, 0x1c0, v36
; %bb.11:
	s_or_saveexec_b64 s[2:3], s[0:1]
	v_lshlrev_b64 v[40:41], 3, v[1:2]
	s_xor_b64 exec, exec, s[2:3]
	s_cbranch_execz .LBB0_13
; %bb.12:
	v_mov_b32_e32 v37, 0
	v_mov_b32_e32 v0, s13
	v_add_co_u32_e64 v20, s[0:1], s12, v40
	v_addc_co_u32_e64 v21, s[0:1], v0, v41, s[0:1]
	v_lshlrev_b64 v[0:1], 3, v[36:37]
	v_or_b32_e32 v18, 0x380, v36
	v_mov_b32_e32 v19, v37
	v_add_co_u32_e64 v0, s[0:1], v20, v0
	v_lshlrev_b64 v[18:19], 3, v[18:19]
	v_addc_co_u32_e64 v1, s[0:1], v21, v1, s[0:1]
	v_add_co_u32_e64 v18, s[0:1], v20, v18
	s_movk_i32 s4, 0x1000
	v_addc_co_u32_e64 v19, s[0:1], v21, v19, s[0:1]
	v_add_co_u32_e64 v20, s[0:1], s4, v0
	global_load_dwordx2 v[2:3], v[0:1], off
	global_load_dwordx2 v[4:5], v[0:1], off offset:448
	global_load_dwordx2 v[6:7], v[0:1], off offset:896
	;; [unrolled: 1-line block ×7, first 2 shown]
	v_addc_co_u32_e64 v21, s[0:1], 0, v1, s[0:1]
	global_load_dwordx2 v[22:23], v[0:1], off offset:3584
	global_load_dwordx2 v[24:25], v[0:1], off offset:4032
	;; [unrolled: 1-line block ×8, first 2 shown]
	global_load_dwordx2 v[52:53], v[18:19], off
	global_load_dwordx2 v[54:55], v[20:21], off offset:3520
	v_lshl_add_u32 v0, v36, 3, 0
	v_add_u32_e32 v49, 0x70, v36
	v_add_u32_e32 v48, 0xa8, v36
	;; [unrolled: 1-line block ×6, first 2 shown]
	v_or_b32_e32 v42, 0x1c0, v36
	v_add_u32_e32 v1, 0x400, v0
	v_add_u32_e32 v18, 0x800, v0
	;; [unrolled: 1-line block ×4, first 2 shown]
	s_waitcnt vmcnt(16)
	ds_write2_b64 v0, v[2:3], v[4:5] offset1:56
	s_waitcnt vmcnt(14)
	ds_write2_b64 v0, v[6:7], v[8:9] offset0:112 offset1:168
	s_waitcnt vmcnt(12)
	ds_write2_b64 v1, v[10:11], v[12:13] offset0:96 offset1:152
	;; [unrolled: 2-line block ×8, first 2 shown]
.LBB0_13:
	s_or_b64 exec, exec, s[2:3]
	v_lshlrev_b32_e32 v37, 3, v36
	v_add_u32_e32 v58, 0, v37
	s_waitcnt lgkmcnt(0)
	; wave barrier
	s_waitcnt lgkmcnt(0)
	v_add_u32_e32 v70, 0x800, v58
	ds_read2_b64 v[1:4], v58 offset1:56
	ds_read2_b64 v[5:8], v70 offset0:192 offset1:248
	v_add_u32_e32 v71, 0x1000, v58
	v_and_b32_e32 v80, 1, v36
	v_lshl_add_u32 v63, v48, 4, 0
	v_lshl_add_u32 v45, v47, 4, 0
	s_waitcnt lgkmcnt(0)
	v_sub_f32_e32 v33, v1, v7
	v_sub_f32_e32 v34, v2, v8
	v_fma_f32 v0, v1, 2.0, -v33
	v_fma_f32 v1, v2, 2.0, -v34
	v_add_u32_e32 v2, 0x400, v58
	v_add_u32_e32 v8, 0x1800, v58
	ds_read2_b64 v[9:12], v71 offset0:48 offset1:104
	ds_read2_b64 v[13:16], v58 offset0:112 offset1:168
	;; [unrolled: 1-line block ×7, first 2 shown]
	v_add_u32_e32 v7, v58, v37
	s_waitcnt lgkmcnt(0)
	; wave barrier
	s_waitcnt lgkmcnt(0)
	ds_write2_b64 v7, v[0:1], v[33:34] offset1:1
	v_sub_f32_e32 v0, v3, v9
	v_sub_f32_e32 v1, v4, v10
	v_fma_f32 v3, v3, 2.0, -v0
	v_fma_f32 v4, v4, 2.0, -v1
	v_lshl_add_u32 v7, v38, 4, 0
	ds_write2_b64 v7, v[3:4], v[0:1] offset1:1
	v_sub_f32_e32 v0, v13, v11
	v_sub_f32_e32 v1, v14, v12
	v_sub_f32_e32 v11, v15, v17
	v_sub_f32_e32 v12, v16, v18
	v_fma_f32 v9, v13, 2.0, -v0
	v_fma_f32 v10, v14, 2.0, -v1
	v_fma_f32 v13, v15, 2.0, -v11
	v_fma_f32 v14, v16, 2.0, -v12
	v_sub_f32_e32 v15, v21, v19
	v_sub_f32_e32 v16, v22, v20
	v_sub_f32_e32 v19, v23, v25
	v_sub_f32_e32 v20, v24, v26
	v_fma_f32 v17, v21, 2.0, -v15
	v_fma_f32 v18, v22, 2.0, -v16
	v_fma_f32 v21, v23, 2.0, -v19
	v_fma_f32 v22, v24, 2.0, -v20
	;; [unrolled: 8-line block ×3, first 2 shown]
	v_sub_f32_e32 v31, v5, v52
	v_sub_f32_e32 v32, v6, v53
	v_lshl_add_u32 v3, v49, 4, 0
	v_fma_f32 v4, v5, 2.0, -v31
	v_fma_f32 v5, v6, 2.0, -v32
	ds_write2_b64 v3, v[9:10], v[0:1] offset1:1
	v_lshl_add_u32 v62, v46, 4, 0
	v_lshl_add_u32 v61, v44, 4, 0
	;; [unrolled: 1-line block ×4, first 2 shown]
	v_lshlrev_b32_e32 v0, 3, v80
	ds_write2_b64 v63, v[13:14], v[11:12] offset1:1
	ds_write2_b64 v45, v[17:18], v[15:16] offset1:1
	;; [unrolled: 1-line block ×6, first 2 shown]
	s_waitcnt lgkmcnt(0)
	; wave barrier
	s_waitcnt lgkmcnt(0)
	global_load_dwordx2 v[28:29], v0, s[8:9]
	v_add_u32_e32 v10, 0xc00, v58
	ds_read2_b64 v[12:15], v10 offset0:120 offset1:176
	ds_read_b64 v[5:6], v58
	s_movk_i32 s0, 0x7c
	v_lshl_add_u32 v64, v38, 3, 0
	v_lshlrev_b32_e32 v9, 3, v49
	v_lshlrev_b32_e32 v39, 3, v48
	;; [unrolled: 1-line block ×7, first 2 shown]
	v_sub_u32_e32 v4, v3, v9
	v_sub_u32_e32 v0, v63, v39
	ds_read_b64 v[30:31], v64
	ds_read_b64 v[32:33], v4
	;; [unrolled: 1-line block ×3, first 2 shown]
	v_sub_u32_e32 v11, v60, v69
	s_movk_i32 s1, 0x2fc
	v_and_b32_e32 v88, 3, v36
	s_mov_b32 s2, 0xaaab
	s_waitcnt vmcnt(0) lgkmcnt(4)
	v_mul_f32_e32 v1, v29, v13
	v_mul_f32_e32 v7, v29, v12
	v_fmac_f32_e32 v1, v28, v12
	v_fma_f32 v7, v28, v13, -v7
	v_lshlrev_b32_e32 v13, 1, v36
	s_waitcnt lgkmcnt(3)
	v_sub_f32_e32 v50, v5, v1
	v_sub_f32_e32 v51, v6, v7
	v_and_or_b32 v81, v13, s0, v80
	v_fma_f32 v52, v5, 2.0, -v50
	v_fma_f32 v53, v6, 2.0, -v51
	v_lshl_add_u32 v81, v81, 3, 0
	v_sub_u32_e32 v1, v45, v66
	v_add_u32_e32 v7, 0x1400, v58
	v_sub_u32_e32 v5, v62, v67
	v_sub_u32_e32 v6, v61, v68
	v_sub_u32_e32 v12, v59, v65
	ds_read2_b32 v[54:55], v8 offset0:144 offset1:145
	ds_read_b64 v[56:57], v1
	ds_read_b64 v[72:73], v5
	;; [unrolled: 1-line block ×5, first 2 shown]
	ds_read2_b64 v[16:19], v71 offset0:104 offset1:160
	ds_read2_b64 v[20:23], v7 offset0:88 offset1:144
	ds_read2_b64 v[24:27], v8 offset0:128 offset1:184
	s_waitcnt lgkmcnt(0)
	; wave barrier
	s_waitcnt lgkmcnt(0)
	ds_write2_b64 v81, v[52:53], v[50:51] offset1:2
	v_mul_f32_e32 v50, v29, v15
	v_fmac_f32_e32 v50, v28, v14
	v_mul_f32_e32 v14, v29, v14
	v_fma_f32 v14, v28, v15, -v14
	v_sub_f32_e32 v51, v31, v14
	s_movk_i32 s0, 0xfc
	v_lshlrev_b32_e32 v14, 1, v38
	v_sub_f32_e32 v50, v30, v50
	v_and_or_b32 v15, v14, s0, v80
	v_fma_f32 v30, v30, 2.0, -v50
	v_fma_f32 v31, v31, 2.0, -v51
	v_lshl_add_u32 v15, v15, 3, 0
	ds_write2_b64 v15, v[30:31], v[50:51] offset1:2
	v_mul_f32_e32 v15, v29, v17
	v_fmac_f32_e32 v15, v28, v16
	v_mul_f32_e32 v16, v29, v16
	v_fma_f32 v17, v28, v17, -v16
	v_sub_f32_e32 v16, v32, v15
	s_movk_i32 s0, 0x1fc
	v_lshlrev_b32_e32 v15, 1, v49
	v_sub_f32_e32 v17, v33, v17
	v_fma_f32 v30, v32, 2.0, -v16
	v_and_or_b32 v32, v15, s0, v80
	v_fma_f32 v31, v33, 2.0, -v17
	v_lshl_add_u32 v32, v32, 3, 0
	ds_write2_b64 v32, v[30:31], v[16:17] offset1:2
	v_mul_f32_e32 v16, v29, v19
	v_fmac_f32_e32 v16, v28, v18
	v_mul_f32_e32 v17, v29, v18
	v_fma_f32 v18, v28, v19, -v17
	v_sub_f32_e32 v17, v34, v16
	v_lshlrev_b32_e32 v16, 1, v48
	v_sub_f32_e32 v18, v35, v18
	v_and_or_b32 v19, v16, s0, v80
	v_fma_f32 v30, v34, 2.0, -v17
	v_fma_f32 v31, v35, 2.0, -v18
	v_lshl_add_u32 v19, v19, 3, 0
	ds_write2_b64 v19, v[30:31], v[17:18] offset1:2
	v_mul_f32_e32 v17, v29, v21
	v_fmac_f32_e32 v17, v28, v20
	v_mul_f32_e32 v18, v29, v20
	v_fma_f32 v19, v28, v21, -v18
	v_sub_f32_e32 v18, v56, v17
	s_movk_i32 s0, 0x3fc
	v_lshlrev_b32_e32 v17, 1, v47
	v_sub_f32_e32 v19, v57, v19
	v_and_or_b32 v30, v17, s0, v80
	v_fma_f32 v20, v56, 2.0, -v18
	v_fma_f32 v21, v57, 2.0, -v19
	v_lshl_add_u32 v30, v30, 3, 0
	ds_write2_b64 v30, v[20:21], v[18:19] offset1:2
	v_mul_f32_e32 v18, v29, v23
	v_fmac_f32_e32 v18, v28, v22
	v_mul_f32_e32 v19, v29, v22
	v_fma_f32 v20, v28, v23, -v19
	v_sub_f32_e32 v19, v72, v18
	v_lshlrev_b32_e32 v18, 1, v46
	v_sub_f32_e32 v20, v73, v20
	v_and_or_b32 v23, v18, s1, v80
	v_fma_f32 v21, v72, 2.0, -v19
	v_fma_f32 v22, v73, 2.0, -v20
	v_lshl_add_u32 v23, v23, 3, 0
	ds_write2_b64 v23, v[21:22], v[19:20] offset1:2
	v_mul_f32_e32 v30, v25, v29
	v_mul_f32_e32 v19, v24, v29
	v_fmac_f32_e32 v30, v24, v28
	v_fma_f32 v24, v25, v28, -v19
	v_mul_f32_e32 v31, v27, v29
	v_mul_f32_e32 v19, v26, v29
	v_fmac_f32_e32 v31, v26, v28
	v_fma_f32 v26, v27, v28, -v19
	;; [unrolled: 4-line block ×3, first 2 shown]
	v_lshlrev_b32_e32 v21, 1, v44
	v_sub_f32_e32 v19, v74, v19
	v_sub_f32_e32 v20, v75, v20
	v_and_or_b32 v25, v21, s0, v80
	v_fma_f32 v22, v74, 2.0, -v19
	v_fma_f32 v23, v75, 2.0, -v20
	v_lshl_add_u32 v25, v25, 3, 0
	ds_write2_b64 v25, v[22:23], v[19:20] offset1:2
	v_lshlrev_b32_e32 v20, 1, v43
	v_sub_f32_e32 v22, v76, v30
	v_sub_f32_e32 v23, v77, v24
	v_and_or_b32 v19, v20, s0, v80
	v_fma_f32 v24, v76, 2.0, -v22
	v_fma_f32 v25, v77, 2.0, -v23
	v_lshl_add_u32 v19, v19, 3, 0
	ds_write2_b64 v19, v[24:25], v[22:23] offset1:2
	;; [unrolled: 8-line block ×3, first 2 shown]
	v_lshlrev_b32_e32 v22, 3, v88
	s_waitcnt lgkmcnt(0)
	; wave barrier
	s_waitcnt lgkmcnt(0)
	global_load_dwordx2 v[34:35], v22, s[8:9] offset:16
	ds_read2_b64 v[22:25], v10 offset0:120 offset1:176
	ds_read_b64 v[26:27], v58
	s_movk_i32 s0, 0x78
	v_and_or_b32 v89, v13, s0, v88
	v_lshl_add_u32 v89, v89, 3, 0
	s_movk_i32 s0, 0xf8
	s_movk_i32 s1, 0x2f8
	s_waitcnt vmcnt(0) lgkmcnt(1)
	v_mul_f32_e32 v28, v35, v23
	v_fmac_f32_e32 v28, v34, v22
	v_mul_f32_e32 v22, v35, v22
	v_fma_f32 v29, v34, v23, -v22
	ds_read_b64 v[22:23], v58 offset:7616
	ds_read_b64 v[54:55], v4
	ds_read_b64 v[56:57], v64
	s_waitcnt lgkmcnt(3)
	v_sub_f32_e32 v72, v26, v28
	v_sub_f32_e32 v73, v27, v29
	v_fma_f32 v74, v26, 2.0, -v72
	v_fma_f32 v75, v27, 2.0, -v73
	ds_read_b64 v[76:77], v0
	ds_read_b64 v[78:79], v1
	ds_read_b64 v[80:81], v5
	ds_read_b64 v[82:83], v6
	ds_read_b64 v[84:85], v11
	ds_read_b64 v[86:87], v12
	ds_read2_b64 v[26:29], v71 offset0:104 offset1:160
	ds_read2_b64 v[30:33], v7 offset0:88 offset1:144
	;; [unrolled: 1-line block ×3, first 2 shown]
	s_waitcnt lgkmcnt(0)
	; wave barrier
	s_waitcnt lgkmcnt(0)
	ds_write2_b64 v89, v[74:75], v[72:73] offset1:4
	v_mul_f32_e32 v72, v35, v25
	v_fmac_f32_e32 v72, v34, v24
	v_mul_f32_e32 v24, v35, v24
	v_fma_f32 v25, v34, v25, -v24
	v_sub_f32_e32 v24, v56, v72
	v_sub_f32_e32 v25, v57, v25
	v_and_or_b32 v72, v14, s0, v88
	v_fma_f32 v56, v56, 2.0, -v24
	v_fma_f32 v57, v57, 2.0, -v25
	v_lshl_add_u32 v72, v72, 3, 0
	ds_write2_b64 v72, v[56:57], v[24:25] offset1:4
	v_mul_f32_e32 v24, v35, v27
	v_fmac_f32_e32 v24, v34, v26
	v_mul_f32_e32 v25, v35, v26
	v_fma_f32 v25, v34, v27, -v25
	v_sub_f32_e32 v24, v54, v24
	s_movk_i32 s0, 0x1f8
	v_sub_f32_e32 v25, v55, v25
	v_fma_f32 v26, v54, 2.0, -v24
	v_and_or_b32 v54, v15, s0, v88
	v_fma_f32 v27, v55, 2.0, -v25
	v_lshl_add_u32 v54, v54, 3, 0
	ds_write2_b64 v54, v[26:27], v[24:25] offset1:4
	v_mul_f32_e32 v24, v35, v29
	v_mul_f32_e32 v25, v35, v28
	v_fmac_f32_e32 v24, v34, v28
	v_fma_f32 v25, v34, v29, -v25
	v_sub_f32_e32 v24, v76, v24
	v_sub_f32_e32 v25, v77, v25
	v_and_or_b32 v28, v16, s0, v88
	v_fma_f32 v26, v76, 2.0, -v24
	v_fma_f32 v27, v77, 2.0, -v25
	v_lshl_add_u32 v28, v28, 3, 0
	ds_write2_b64 v28, v[26:27], v[24:25] offset1:4
	v_mul_f32_e32 v24, v35, v31
	v_mul_f32_e32 v25, v35, v30
	v_fmac_f32_e32 v24, v34, v30
	v_fma_f32 v25, v34, v31, -v25
	s_movk_i32 s0, 0x3f8
	v_sub_f32_e32 v24, v78, v24
	v_sub_f32_e32 v25, v79, v25
	v_and_or_b32 v28, v17, s0, v88
	v_fma_f32 v26, v78, 2.0, -v24
	v_fma_f32 v27, v79, 2.0, -v25
	v_lshl_add_u32 v28, v28, 3, 0
	ds_write2_b64 v28, v[26:27], v[24:25] offset1:4
	v_mul_f32_e32 v24, v35, v33
	v_mul_f32_e32 v25, v35, v32
	v_fmac_f32_e32 v24, v34, v32
	v_fma_f32 v25, v34, v33, -v25
	v_sub_f32_e32 v24, v80, v24
	v_sub_f32_e32 v25, v81, v25
	v_and_or_b32 v28, v18, s1, v88
	v_fma_f32 v26, v80, 2.0, -v24
	v_fma_f32 v27, v81, 2.0, -v25
	v_lshl_add_u32 v28, v28, 3, 0
	ds_write2_b64 v28, v[26:27], v[24:25] offset1:4
	v_mul_f32_e32 v24, v35, v51
	v_mul_f32_e32 v25, v35, v50
	v_fmac_f32_e32 v24, v34, v50
	v_fma_f32 v25, v34, v51, -v25
	;; [unrolled: 11-line block ×3, first 2 shown]
	v_sub_f32_e32 v24, v84, v24
	v_sub_f32_e32 v25, v85, v25
	v_and_or_b32 v28, v20, s0, v88
	v_fma_f32 v26, v84, 2.0, -v24
	v_fma_f32 v27, v85, 2.0, -v25
	v_lshl_add_u32 v28, v28, 3, 0
	ds_write2_b64 v28, v[26:27], v[24:25] offset1:4
	v_mul_f32_e32 v24, v23, v35
	v_fmac_f32_e32 v24, v22, v34
	v_mul_f32_e32 v22, v22, v35
	v_fma_f32 v23, v23, v34, -v22
	v_sub_f32_e32 v22, v86, v24
	v_sub_f32_e32 v23, v87, v23
	v_and_or_b32 v26, v19, s0, v88
	v_fma_f32 v24, v86, 2.0, -v22
	v_fma_f32 v25, v87, 2.0, -v23
	v_lshl_add_u32 v26, v26, 3, 0
	v_and_b32_e32 v86, 7, v36
	ds_write2_b64 v26, v[24:25], v[22:23] offset1:4
	v_lshlrev_b32_e32 v22, 3, v86
	s_waitcnt lgkmcnt(0)
	; wave barrier
	s_waitcnt lgkmcnt(0)
	global_load_dwordx2 v[34:35], v22, s[8:9] offset:48
	ds_read2_b64 v[22:25], v10 offset0:120 offset1:176
	ds_read_b64 v[26:27], v58
	s_movk_i32 s0, 0x70
	v_and_or_b32 v13, v13, s0, v86
	v_lshl_add_u32 v13, v13, 3, 0
	s_movk_i32 s0, 0xf0
	s_movk_i32 s1, 0x2f0
	s_waitcnt vmcnt(0) lgkmcnt(1)
	v_mul_f32_e32 v28, v35, v23
	v_fmac_f32_e32 v28, v34, v22
	v_mul_f32_e32 v22, v35, v22
	v_fma_f32 v29, v34, v23, -v22
	ds_read_b64 v[22:23], v58 offset:7616
	ds_read_b64 v[54:55], v4
	ds_read_b64 v[56:57], v64
	s_waitcnt lgkmcnt(3)
	v_sub_f32_e32 v72, v26, v28
	v_sub_f32_e32 v73, v27, v29
	v_fma_f32 v74, v26, 2.0, -v72
	v_fma_f32 v75, v27, 2.0, -v73
	ds_read_b64 v[76:77], v11
	ds_read_b64 v[11:12], v12
	;; [unrolled: 1-line block ×6, first 2 shown]
	ds_read2_b64 v[26:29], v71 offset0:104 offset1:160
	ds_read2_b64 v[30:33], v7 offset0:88 offset1:144
	;; [unrolled: 1-line block ×3, first 2 shown]
	s_waitcnt lgkmcnt(0)
	; wave barrier
	s_waitcnt lgkmcnt(0)
	ds_write2_b64 v13, v[74:75], v[72:73] offset1:8
	v_mul_f32_e32 v13, v35, v25
	v_fmac_f32_e32 v13, v34, v24
	v_mul_f32_e32 v24, v35, v24
	v_fma_f32 v25, v34, v25, -v24
	v_sub_f32_e32 v24, v56, v13
	v_sub_f32_e32 v25, v57, v25
	v_and_or_b32 v13, v14, s0, v86
	v_fma_f32 v56, v56, 2.0, -v24
	v_fma_f32 v57, v57, 2.0, -v25
	v_lshl_add_u32 v13, v13, 3, 0
	ds_write2_b64 v13, v[56:57], v[24:25] offset1:8
	v_mul_f32_e32 v13, v35, v27
	v_mul_f32_e32 v14, v35, v26
	v_fmac_f32_e32 v13, v34, v26
	v_fma_f32 v14, v34, v27, -v14
	s_movk_i32 s0, 0x1f0
	v_sub_f32_e32 v13, v54, v13
	v_sub_f32_e32 v14, v55, v14
	v_and_or_b32 v15, v15, s0, v86
	v_fma_f32 v24, v54, 2.0, -v13
	v_fma_f32 v25, v55, 2.0, -v14
	v_lshl_add_u32 v15, v15, 3, 0
	ds_write2_b64 v15, v[24:25], v[13:14] offset1:8
	v_mul_f32_e32 v13, v35, v29
	v_mul_f32_e32 v14, v35, v28
	v_fmac_f32_e32 v13, v34, v28
	v_fma_f32 v14, v34, v29, -v14
	v_sub_f32_e32 v13, v78, v13
	v_sub_f32_e32 v14, v79, v14
	v_and_or_b32 v15, v16, s0, v86
	v_fma_f32 v24, v78, 2.0, -v13
	v_fma_f32 v25, v79, 2.0, -v14
	v_lshl_add_u32 v15, v15, 3, 0
	ds_write2_b64 v15, v[24:25], v[13:14] offset1:8
	v_mul_f32_e32 v13, v35, v31
	v_mul_f32_e32 v14, v35, v30
	v_fmac_f32_e32 v13, v34, v30
	v_fma_f32 v14, v34, v31, -v14
	s_movk_i32 s0, 0x3f0
	v_sub_f32_e32 v13, v80, v13
	v_sub_f32_e32 v14, v81, v14
	v_and_or_b32 v17, v17, s0, v86
	v_fma_f32 v15, v80, 2.0, -v13
	v_fma_f32 v16, v81, 2.0, -v14
	v_lshl_add_u32 v17, v17, 3, 0
	ds_write2_b64 v17, v[15:16], v[13:14] offset1:8
	v_mul_f32_e32 v13, v35, v33
	v_mul_f32_e32 v14, v35, v32
	v_fmac_f32_e32 v13, v34, v32
	v_fma_f32 v14, v34, v33, -v14
	v_sub_f32_e32 v13, v82, v13
	v_sub_f32_e32 v14, v83, v14
	v_and_or_b32 v17, v18, s1, v86
	v_fma_f32 v15, v82, 2.0, -v13
	v_fma_f32 v16, v83, 2.0, -v14
	v_lshl_add_u32 v17, v17, 3, 0
	ds_write2_b64 v17, v[15:16], v[13:14] offset1:8
	v_mul_f32_e32 v13, v35, v51
	v_mul_f32_e32 v14, v35, v50
	v_fmac_f32_e32 v13, v34, v50
	v_fma_f32 v14, v34, v51, -v14
	;; [unrolled: 11-line block ×4, first 2 shown]
	v_sub_f32_e32 v13, v11, v13
	v_sub_f32_e32 v14, v12, v14
	v_and_or_b32 v15, v19, s0, v86
	v_fma_f32 v11, v11, 2.0, -v13
	v_fma_f32 v12, v12, 2.0, -v14
	v_lshl_add_u32 v15, v15, 3, 0
	v_and_b32_e32 v35, 15, v38
	ds_write2_b64 v15, v[11:12], v[13:14] offset1:8
	v_lshlrev_b32_e32 v11, 4, v35
	s_waitcnt lgkmcnt(0)
	; wave barrier
	s_waitcnt lgkmcnt(0)
	global_load_dwordx4 v[11:14], v11, s[8:9] offset:112
	v_and_b32_e32 v54, 15, v36
	v_lshlrev_b32_e32 v15, 4, v54
	global_load_dwordx4 v[15:18], v15, s[8:9] offset:112
	v_and_b32_e32 v55, 15, v48
	v_lshlrev_b32_e32 v19, 4, v55
	;; [unrolled: 3-line block ×3, first 2 shown]
	global_load_dwordx4 v[23:26], v23, s[8:9] offset:112
	ds_read_b64 v[31:32], v58 offset:3136
	ds_read2_b64 v[27:30], v7 offset0:88 offset1:144
	ds_read_b64 v[33:34], v58 offset:7616
	ds_read_b64 v[50:51], v64
	ds_read_b64 v[52:53], v58
	s_movk_i32 s0, 0xab
	s_waitcnt vmcnt(3) lgkmcnt(4)
	v_mul_f32_e32 v57, v12, v32
	v_mul_f32_e32 v12, v12, v31
	v_fmac_f32_e32 v57, v11, v31
	v_fma_f32 v31, v11, v32, -v12
	s_waitcnt lgkmcnt(3)
	v_mul_f32_e32 v32, v14, v28
	v_mul_f32_e32 v11, v14, v27
	v_fmac_f32_e32 v32, v13, v27
	v_fma_f32 v72, v13, v28, -v11
	ds_read2_b64 v[11:14], v10 offset0:120 offset1:176
	s_waitcnt vmcnt(2)
	v_mul_f32_e32 v73, v30, v18
	v_mul_f32_e32 v27, v29, v18
	v_fmac_f32_e32 v73, v29, v17
	v_fma_f32 v74, v30, v17, -v27
	ds_read2_b64 v[27:30], v8 offset0:72 offset1:128
	s_waitcnt vmcnt(1) lgkmcnt(1)
	v_mul_f32_e32 v75, v12, v20
	v_fmac_f32_e32 v75, v11, v19
	v_mul_f32_e32 v11, v11, v20
	v_fma_f32 v76, v12, v19, -v11
	s_waitcnt lgkmcnt(0)
	v_mul_f32_e32 v77, v28, v22
	v_mul_f32_e32 v11, v27, v22
	v_fmac_f32_e32 v77, v27, v21
	v_fma_f32 v27, v28, v21, -v11
	v_mul_f32_e32 v11, v13, v16
	v_fma_f32 v78, v14, v15, -v11
	ds_read_b64 v[11:12], v6
	v_mul_f32_e32 v28, v14, v16
	v_fmac_f32_e32 v28, v13, v15
	v_mul_f32_e32 v79, v30, v18
	v_mul_f32_e32 v13, v29, v18
	s_waitcnt lgkmcnt(0)
	v_mul_f32_e32 v21, v16, v12
	ds_read2_b32 v[19:20], v10 offset0:128 offset1:129
	v_fmac_f32_e32 v21, v15, v11
	v_mul_f32_e32 v11, v16, v11
	v_fmac_f32_e32 v79, v29, v17
	v_fma_f32 v29, v30, v17, -v13
	v_fma_f32 v22, v15, v12, -v11
	ds_read2_b64 v[11:14], v71 offset0:104 offset1:160
	s_waitcnt lgkmcnt(1)
	v_mul_f32_e32 v30, v20, v16
	v_mul_f32_e32 v16, v16, v19
	v_fmac_f32_e32 v30, v15, v19
	v_fma_f32 v80, v20, v15, -v16
	s_waitcnt lgkmcnt(0)
	v_mul_f32_e32 v15, v18, v14
	s_waitcnt vmcnt(0)
	v_mul_f32_e32 v81, v12, v24
	v_fmac_f32_e32 v15, v17, v13
	v_fmac_f32_e32 v81, v11, v23
	v_mul_f32_e32 v11, v11, v24
	v_mul_f32_e32 v13, v18, v13
	v_fma_f32 v23, v12, v23, -v11
	v_mul_f32_e32 v24, v34, v26
	v_mul_f32_e32 v11, v33, v26
	v_add_f32_e32 v12, v21, v15
	v_fma_f32 v13, v17, v14, -v13
	v_fmac_f32_e32 v24, v33, v25
	v_fma_f32 v25, v34, v25, -v11
	v_add_f32_e32 v11, v52, v21
	v_fma_f32 v52, -0.5, v12, v52
	v_add_f32_e32 v12, v53, v22
	v_add_f32_e32 v12, v12, v13
	v_sub_f32_e32 v26, v22, v13
	v_add_f32_e32 v13, v22, v13
	v_lshrrev_b32_e32 v34, 4, v36
	v_fmac_f32_e32 v53, -0.5, v13
	v_mul_u32_u24_e32 v34, 48, v34
	v_sub_f32_e32 v33, v21, v15
	v_mov_b32_e32 v13, v52
	v_mov_b32_e32 v14, v53
	v_or_b32_e32 v34, v34, v54
	v_add_f32_e32 v11, v11, v15
	v_fmac_f32_e32 v13, 0xbf5db3d7, v26
	v_fmac_f32_e32 v14, 0x3f5db3d7, v33
	v_lshl_add_u32 v34, v34, 3, 0
	ds_read_b64 v[15:16], v4
	ds_read_b64 v[17:18], v0
	;; [unrolled: 1-line block ×4, first 2 shown]
	s_waitcnt lgkmcnt(0)
	; wave barrier
	s_waitcnt lgkmcnt(0)
	ds_write2_b64 v34, v[11:12], v[13:14] offset1:16
	v_lshrrev_b32_e32 v13, 4, v38
	v_mul_lo_u32 v13, v13, 48
	v_add_f32_e32 v12, v57, v32
	v_add_f32_e32 v14, v31, v72
	v_add_f32_e32 v11, v50, v57
	v_fma_f32 v50, -0.5, v12, v50
	v_add_f32_e32 v12, v51, v31
	v_fmac_f32_e32 v51, -0.5, v14
	v_fmac_f32_e32 v52, 0x3f5db3d7, v26
	v_add_f32_e32 v11, v11, v32
	v_sub_f32_e32 v26, v31, v72
	v_sub_f32_e32 v31, v57, v32
	v_or_b32_e32 v32, v13, v35
	v_mov_b32_e32 v13, v50
	v_mov_b32_e32 v14, v51
	v_fmac_f32_e32 v53, 0xbf5db3d7, v33
	v_add_f32_e32 v12, v12, v72
	v_fmac_f32_e32 v13, 0xbf5db3d7, v26
	v_fmac_f32_e32 v14, 0x3f5db3d7, v31
	v_lshl_add_u32 v32, v32, 3, 0
	ds_write_b64 v34, v[52:53] offset:256
	ds_write2_b64 v32, v[11:12], v[13:14] offset1:16
	v_add_f32_e32 v12, v30, v73
	v_add_f32_e32 v13, v80, v74
	v_add_f32_e32 v11, v15, v30
	v_fma_f32 v15, -0.5, v12, v15
	v_add_f32_e32 v12, v16, v80
	v_fmac_f32_e32 v16, -0.5, v13
	v_lshrrev_b32_e32 v13, 4, v49
	v_fmac_f32_e32 v51, 0xbf5db3d7, v31
	v_mul_lo_u32 v31, v13, 48
	v_fmac_f32_e32 v50, 0x3f5db3d7, v26
	v_sub_f32_e32 v26, v80, v74
	v_sub_f32_e32 v30, v30, v73
	v_mov_b32_e32 v13, v15
	v_mov_b32_e32 v14, v16
	v_or_b32_e32 v31, v31, v54
	v_add_f32_e32 v11, v11, v73
	v_add_f32_e32 v12, v12, v74
	v_fmac_f32_e32 v13, 0xbf5db3d7, v26
	v_fmac_f32_e32 v14, 0x3f5db3d7, v30
	v_lshl_add_u32 v31, v31, 3, 0
	ds_write_b64 v32, v[50:51] offset:256
	ds_write2_b64 v31, v[11:12], v[13:14] offset1:16
	v_lshrrev_b32_e32 v13, 4, v48
	v_mul_lo_u32 v13, v13, 48
	v_add_f32_e32 v12, v75, v77
	v_add_f32_e32 v14, v76, v27
	v_fmac_f32_e32 v15, 0x3f5db3d7, v26
	v_fmac_f32_e32 v16, 0xbf5db3d7, v30
	v_add_f32_e32 v11, v17, v75
	v_fma_f32 v17, -0.5, v12, v17
	v_add_f32_e32 v12, v18, v76
	v_fmac_f32_e32 v18, -0.5, v14
	ds_write_b64 v31, v[15:16] offset:256
	v_sub_f32_e32 v15, v76, v27
	v_sub_f32_e32 v16, v75, v77
	v_or_b32_e32 v26, v13, v55
	v_mov_b32_e32 v13, v17
	v_mov_b32_e32 v14, v18
	v_add_f32_e32 v11, v11, v77
	v_add_f32_e32 v12, v12, v27
	v_fmac_f32_e32 v13, 0xbf5db3d7, v15
	v_fmac_f32_e32 v14, 0x3f5db3d7, v16
	v_lshl_add_u32 v26, v26, 3, 0
	ds_write2_b64 v26, v[11:12], v[13:14] offset1:16
	v_lshrrev_b32_e32 v13, 4, v47
	v_mul_lo_u32 v13, v13, 48
	v_add_f32_e32 v12, v28, v79
	v_add_f32_e32 v14, v78, v29
	v_fmac_f32_e32 v17, 0x3f5db3d7, v15
	v_fmac_f32_e32 v18, 0xbf5db3d7, v16
	v_add_f32_e32 v11, v19, v28
	v_fma_f32 v19, -0.5, v12, v19
	v_add_f32_e32 v12, v20, v78
	v_fmac_f32_e32 v20, -0.5, v14
	ds_write_b64 v26, v[17:18] offset:256
	v_sub_f32_e32 v15, v78, v29
	v_sub_f32_e32 v16, v28, v79
	v_or_b32_e32 v17, v13, v54
	v_mov_b32_e32 v13, v19
	v_mov_b32_e32 v14, v20
	v_add_f32_e32 v11, v11, v79
	v_add_f32_e32 v12, v12, v29
	v_fmac_f32_e32 v13, 0xbf5db3d7, v15
	v_fmac_f32_e32 v14, 0x3f5db3d7, v16
	v_lshl_add_u32 v17, v17, 3, 0
	;; [unrolled: 22-line block ×3, first 2 shown]
	ds_write2_b64 v17, v[11:12], v[13:14] offset1:16
	v_mul_lo_u16_sdwa v11, v38, s0 dst_sel:DWORD dst_unused:UNUSED_PAD src0_sel:BYTE_0 src1_sel:DWORD
	v_lshrrev_b16_e32 v35, 13, v11
	v_fmac_f32_e32 v21, 0x3f5db3d7, v15
	v_mul_lo_u16_e32 v11, 48, v35
	v_mul_lo_u16_sdwa v15, v49, s0 dst_sel:DWORD dst_unused:UNUSED_PAD src0_sel:BYTE_0 src1_sel:DWORD
	v_sub_u16_e32 v76, v38, v11
	v_mov_b32_e32 v19, 4
	v_lshrrev_b16_e32 v77, 13, v15
	v_fmac_f32_e32 v22, 0xbf5db3d7, v16
	v_lshlrev_b32_sdwa v11, v19, v76 dst_sel:DWORD dst_unused:UNUSED_PAD src0_sel:DWORD src1_sel:BYTE_0
	v_mul_lo_u16_e32 v15, 48, v77
	ds_write_b64 v17, v[21:22] offset:256
	s_waitcnt lgkmcnt(0)
	; wave barrier
	s_waitcnt lgkmcnt(0)
	global_load_dwordx4 v[11:14], v11, s[8:9] offset:368
	v_sub_u16_e32 v78, v49, v15
	v_lshlrev_b32_sdwa v15, v19, v78 dst_sel:DWORD dst_unused:UNUSED_PAD src0_sel:DWORD src1_sel:BYTE_0
	global_load_dwordx4 v[15:18], v15, s[8:9] offset:368
	v_mul_lo_u16_sdwa v20, v48, s0 dst_sel:DWORD dst_unused:UNUSED_PAD src0_sel:BYTE_0 src1_sel:DWORD
	v_lshrrev_b16_e32 v79, 13, v20
	v_mul_lo_u16_e32 v20, 48, v79
	v_mul_u32_u24_sdwa v23, v47, s2 dst_sel:DWORD dst_unused:UNUSED_PAD src0_sel:WORD_0 src1_sel:DWORD
	v_sub_u16_e32 v80, v48, v20
	v_lshrrev_b32_e32 v81, 21, v23
	v_subrev_u32_e32 v27, 48, v36
	v_cmp_gt_u32_e64 s[0:1], 48, v36
	v_lshlrev_b32_sdwa v19, v19, v80 dst_sel:DWORD dst_unused:UNUSED_PAD src0_sel:DWORD src1_sel:BYTE_0
	v_mul_lo_u16_e32 v23, 48, v81
	v_cndmask_b32_e64 v83, v27, v36, s[0:1]
	global_load_dwordx4 v[19:22], v19, s[8:9] offset:368
	v_sub_u16_e32 v82, v47, v23
	v_lshlrev_b32_e32 v52, 1, v83
	v_mov_b32_e32 v53, 0
	v_lshlrev_b32_e32 v23, 4, v82
	global_load_dwordx4 v[23:26], v23, s[8:9] offset:368
	v_lshlrev_b64 v[27:28], 3, v[52:53]
	v_mul_u32_u24_sdwa v31, v46, s2 dst_sel:DWORD dst_unused:UNUSED_PAD src0_sel:WORD_0 src1_sel:DWORD
	v_mov_b32_e32 v29, s9
	v_add_co_u32_e64 v27, s[0:1], s8, v27
	v_lshrrev_b32_e32 v52, 21, v31
	v_addc_co_u32_e64 v28, s[0:1], v29, v28, s[0:1]
	v_mul_lo_u16_e32 v31, 48, v52
	global_load_dwordx4 v[27:30], v[27:28], off offset:368
	v_sub_u16_e32 v84, v46, v31
	v_lshlrev_b32_e32 v31, 4, v84
	global_load_dwordx4 v[31:34], v31, s[8:9] offset:368
	ds_read2_b64 v[54:57], v70 offset0:136 offset1:192
	ds_read2_b64 v[72:75], v7 offset0:88 offset1:144
	v_cmp_lt_u32_e64 s[0:1], 47, v36
	s_waitcnt vmcnt(5) lgkmcnt(1)
	v_mul_f32_e32 v85, v12, v55
	v_mul_f32_e32 v7, v12, v54
	v_fmac_f32_e32 v85, v11, v54
	v_fma_f32 v54, v11, v55, -v7
	s_waitcnt lgkmcnt(0)
	v_mul_f32_e32 v55, v14, v73
	v_mul_f32_e32 v7, v14, v72
	v_fmac_f32_e32 v55, v13, v72
	v_fma_f32 v72, v13, v73, -v7
	s_waitcnt vmcnt(4)
	v_mul_f32_e32 v73, v57, v16
	v_mul_f32_e32 v7, v56, v16
	v_fmac_f32_e32 v73, v56, v15
	v_fma_f32 v56, v57, v15, -v7
	v_mul_f32_e32 v57, v75, v18
	ds_read2_b64 v[11:14], v10 offset0:120 offset1:176
	v_mul_f32_e32 v7, v74, v18
	v_fmac_f32_e32 v57, v74, v17
	v_fma_f32 v74, v75, v17, -v7
	ds_read2_b64 v[15:18], v8 offset0:72 offset1:128
	s_waitcnt vmcnt(3) lgkmcnt(1)
	v_mul_f32_e32 v75, v12, v20
	v_mul_f32_e32 v7, v11, v20
	v_fmac_f32_e32 v75, v11, v19
	v_fma_f32 v19, v12, v19, -v7
	s_waitcnt lgkmcnt(0)
	v_mul_f32_e32 v20, v16, v22
	v_mul_f32_e32 v7, v15, v22
	v_fmac_f32_e32 v20, v15, v21
	v_fma_f32 v21, v16, v21, -v7
	s_waitcnt vmcnt(2)
	v_mul_f32_e32 v22, v14, v24
	v_mul_f32_e32 v7, v13, v24
	v_fmac_f32_e32 v22, v13, v23
	v_fma_f32 v23, v14, v23, -v7
	v_mul_f32_e32 v24, v18, v26
	v_mul_f32_e32 v7, v17, v26
	v_fmac_f32_e32 v24, v17, v25
	v_fma_f32 v25, v18, v25, -v7
	ds_read_b64 v[6:7], v6
	ds_read2_b64 v[11:14], v71 offset0:104 offset1:160
	ds_read_b64 v[15:16], v0
	ds_read_b64 v[50:51], v1
	;; [unrolled: 1-line block ×3, first 2 shown]
	s_waitcnt vmcnt(1) lgkmcnt(4)
	v_mul_f32_e32 v26, v28, v7
	v_mul_f32_e32 v5, v28, v6
	v_fmac_f32_e32 v26, v27, v6
	v_fma_f32 v7, v27, v7, -v5
	s_waitcnt lgkmcnt(3)
	v_mul_f32_e32 v27, v30, v14
	v_mul_f32_e32 v5, v30, v13
	v_fmac_f32_e32 v27, v29, v13
	v_fma_f32 v28, v29, v14, -v5
	s_waitcnt vmcnt(0)
	v_mul_f32_e32 v29, v12, v32
	ds_read_b64 v[5:6], v58 offset:7616
	v_fmac_f32_e32 v29, v11, v31
	v_mul_f32_e32 v11, v11, v32
	v_fma_f32 v30, v12, v31, -v11
	ds_read_b64 v[11:12], v4
	ds_read_b64 v[13:14], v64
	;; [unrolled: 1-line block ×3, first 2 shown]
	s_waitcnt lgkmcnt(3)
	v_mul_f32_e32 v31, v6, v34
	v_mul_f32_e32 v4, v5, v34
	v_fmac_f32_e32 v31, v5, v33
	v_fma_f32 v32, v6, v33, -v4
	v_add_f32_e32 v5, v26, v27
	v_add_f32_e32 v6, v7, v28
	s_waitcnt lgkmcnt(0)
	v_add_f32_e32 v4, v17, v26
	v_fma_f32 v17, -0.5, v5, v17
	v_add_f32_e32 v5, v18, v7
	v_fmac_f32_e32 v18, -0.5, v6
	v_mov_b32_e32 v6, 0x480
	v_sub_f32_e32 v33, v7, v28
	v_cndmask_b32_e64 v6, 0, v6, s[0:1]
	v_lshlrev_b32_e32 v7, 3, v83
	v_add_f32_e32 v4, v4, v27
	v_sub_f32_e32 v26, v26, v27
	v_add3_u32 v27, 0, v6, v7
	v_mov_b32_e32 v6, v17
	v_mov_b32_e32 v7, v18
	v_add_f32_e32 v5, v5, v28
	v_fmac_f32_e32 v6, 0xbf5db3d7, v33
	v_fmac_f32_e32 v7, 0x3f5db3d7, v26
	s_waitcnt lgkmcnt(0)
	; wave barrier
	ds_write2_b64 v27, v[4:5], v[6:7] offset1:48
	v_fmac_f32_e32 v18, 0xbf5db3d7, v26
	v_add_f32_e32 v5, v85, v55
	v_add_f32_e32 v6, v54, v72
	v_mov_b32_e32 v26, 3
	v_fmac_f32_e32 v17, 0x3f5db3d7, v33
	v_add_f32_e32 v4, v13, v85
	v_fma_f32 v13, -0.5, v5, v13
	v_add_f32_e32 v5, v14, v54
	v_fmac_f32_e32 v14, -0.5, v6
	v_mul_u32_u24_e32 v6, 0x480, v35
	v_lshlrev_b32_sdwa v7, v26, v76 dst_sel:DWORD dst_unused:UNUSED_PAD src0_sel:DWORD src1_sel:BYTE_0
	ds_write_b64 v27, v[17:18] offset:768
	v_sub_f32_e32 v17, v54, v72
	v_sub_f32_e32 v18, v85, v55
	v_add3_u32 v27, 0, v6, v7
	v_mov_b32_e32 v6, v13
	v_mov_b32_e32 v7, v14
	v_add_f32_e32 v4, v4, v55
	v_add_f32_e32 v5, v5, v72
	v_fmac_f32_e32 v6, 0xbf5db3d7, v17
	v_fmac_f32_e32 v7, 0x3f5db3d7, v18
	ds_write2_b64 v27, v[4:5], v[6:7] offset1:48
	v_add_f32_e32 v5, v73, v57
	v_add_f32_e32 v6, v56, v74
	v_fmac_f32_e32 v13, 0x3f5db3d7, v17
	v_fmac_f32_e32 v14, 0xbf5db3d7, v18
	v_add_f32_e32 v4, v11, v73
	v_fma_f32 v11, -0.5, v5, v11
	v_add_f32_e32 v5, v12, v56
	v_fmac_f32_e32 v12, -0.5, v6
	v_mul_u32_u24_e32 v6, 0x480, v77
	v_lshlrev_b32_sdwa v7, v26, v78 dst_sel:DWORD dst_unused:UNUSED_PAD src0_sel:DWORD src1_sel:BYTE_0
	ds_write_b64 v27, v[13:14] offset:768
	v_sub_f32_e32 v13, v56, v74
	v_sub_f32_e32 v14, v73, v57
	v_add3_u32 v17, 0, v6, v7
	v_mov_b32_e32 v6, v11
	v_mov_b32_e32 v7, v12
	v_add_f32_e32 v4, v4, v57
	v_add_f32_e32 v5, v5, v74
	v_fmac_f32_e32 v6, 0xbf5db3d7, v13
	v_fmac_f32_e32 v7, 0x3f5db3d7, v14
	ds_write2_b64 v17, v[4:5], v[6:7] offset1:48
	v_add_f32_e32 v5, v75, v20
	v_add_f32_e32 v6, v19, v21
	v_fmac_f32_e32 v11, 0x3f5db3d7, v13
	v_fmac_f32_e32 v12, 0xbf5db3d7, v14
	v_add_f32_e32 v4, v15, v75
	v_fma_f32 v15, -0.5, v5, v15
	v_add_f32_e32 v5, v16, v19
	v_fmac_f32_e32 v16, -0.5, v6
	v_lshlrev_b32_sdwa v6, v26, v80 dst_sel:DWORD dst_unused:UNUSED_PAD src0_sel:DWORD src1_sel:BYTE_0
	v_mul_u32_u24_e32 v7, 0x480, v79
	ds_write_b64 v17, v[11:12] offset:768
	v_sub_f32_e32 v11, v19, v21
	v_sub_f32_e32 v12, v75, v20
	v_add3_u32 v13, 0, v7, v6
	v_mov_b32_e32 v6, v15
	v_mov_b32_e32 v7, v16
	v_add_f32_e32 v4, v4, v20
	v_add_f32_e32 v5, v5, v21
	v_fmac_f32_e32 v6, 0xbf5db3d7, v11
	v_fmac_f32_e32 v7, 0x3f5db3d7, v12
	ds_write2_b64 v13, v[4:5], v[6:7] offset1:48
	v_add_f32_e32 v5, v22, v24
	v_add_f32_e32 v6, v23, v25
	v_fmac_f32_e32 v15, 0x3f5db3d7, v11
	v_fmac_f32_e32 v16, 0xbf5db3d7, v12
	v_add_f32_e32 v4, v50, v22
	v_fma_f32 v50, -0.5, v5, v50
	v_add_f32_e32 v5, v51, v23
	v_fmac_f32_e32 v51, -0.5, v6
	v_mul_u32_u24_e32 v6, 0x480, v81
	v_lshlrev_b32_e32 v7, 3, v82
	ds_write_b64 v13, v[15:16] offset:768
	v_sub_f32_e32 v11, v23, v25
	v_sub_f32_e32 v12, v22, v24
	v_add3_u32 v13, 0, v6, v7
	v_mov_b32_e32 v6, v50
	v_mov_b32_e32 v7, v51
	v_add_f32_e32 v4, v4, v24
	v_add_f32_e32 v5, v5, v25
	v_fmac_f32_e32 v6, 0xbf5db3d7, v11
	v_fmac_f32_e32 v7, 0x3f5db3d7, v12
	ds_write2_b64 v13, v[4:5], v[6:7] offset1:48
	v_add_f32_e32 v5, v29, v31
	v_add_f32_e32 v4, v0, v29
	v_fma_f32 v0, -0.5, v5, v0
	v_mov_b32_e32 v6, v0
	v_sub_f32_e32 v5, v30, v32
	v_add_f32_e32 v7, v30, v32
	v_fmac_f32_e32 v6, 0xbf5db3d7, v5
	v_fmac_f32_e32 v0, 0x3f5db3d7, v5
	v_add_f32_e32 v5, v1, v30
	v_fmac_f32_e32 v1, -0.5, v7
	v_fmac_f32_e32 v50, 0x3f5db3d7, v11
	v_sub_f32_e32 v11, v29, v31
	v_mov_b32_e32 v7, v1
	v_fmac_f32_e32 v51, 0xbf5db3d7, v12
	v_fmac_f32_e32 v7, 0x3f5db3d7, v11
	;; [unrolled: 1-line block ×3, first 2 shown]
	v_mul_u32_u24_e32 v11, 0x480, v52
	v_lshlrev_b32_e32 v12, 3, v84
	v_add_f32_e32 v4, v4, v31
	v_add_f32_e32 v5, v5, v32
	v_add3_u32 v11, 0, v11, v12
	ds_write_b64 v13, v[50:51] offset:768
	ds_write2_b64 v11, v[4:5], v[6:7] offset1:48
	ds_write_b64 v11, v[0:1] offset:768
	s_waitcnt lgkmcnt(0)
	; wave barrier
	s_waitcnt lgkmcnt(0)
	ds_read_b64 v[54:55], v64
	ds_read_b64 v[56:57], v58 offset:7360
	ds_read2_b64 v[28:31], v2 offset0:72 offset1:160
	ds_read2_b64 v[16:19], v10 offset0:104 offset1:192
	ds_read2_b64 v[12:15], v58 offset1:144
	ds_read2_b64 v[32:35], v70 offset0:88 offset1:176
	ds_read2_b64 v[24:27], v71 offset0:120 offset1:208
	;; [unrolled: 1-line block ×3, first 2 shown]
	v_sub_u32_e32 v2, 0, v9
	v_add_u32_e32 v72, v3, v2
	v_cmp_gt_u32_e64 s[0:1], 32, v36
                                        ; implicit-def: $vgpr11
	s_and_saveexec_b64 s[2:3], s[0:1]
	s_cbranch_execz .LBB0_15
; %bb.14:
	ds_read_b64 v[50:51], v72
	ds_read2_b64 v[4:7], v70 offset1:144
	ds_read2_b64 v[0:3], v71 offset0:32 offset1:176
	ds_read2_b64 v[8:11], v8 offset0:64 offset1:208
.LBB0_15:
	s_or_b64 exec, exec, s[2:3]
	v_mul_u32_u24_e32 v52, 6, v36
	v_lshlrev_b32_e32 v52, 3, v52
	global_load_dwordx4 v[73:76], v52, s[8:9] offset:1136
	global_load_dwordx4 v[77:80], v52, s[8:9] offset:1152
	global_load_dwordx4 v[81:84], v52, s[8:9] offset:1168
	v_mul_i32_i24_e32 v52, 6, v38
	v_lshlrev_b64 v[52:53], 3, v[52:53]
	v_mov_b32_e32 v85, s9
	v_add_co_u32_e64 v52, s[2:3], s8, v52
	v_addc_co_u32_e64 v53, s[2:3], v85, v53, s[2:3]
	global_load_dwordx4 v[85:88], v[52:53], off offset:1136
	global_load_dwordx4 v[89:92], v[52:53], off offset:1152
	;; [unrolled: 1-line block ×3, first 2 shown]
	s_mov_b32 s4, 0xbf5ff5aa
	s_mov_b32 s5, 0x3f3bfb3b
	;; [unrolled: 1-line block ×4, first 2 shown]
	s_waitcnt lgkmcnt(0)
	; wave barrier
	s_waitcnt vmcnt(5) lgkmcnt(0)
	v_mul_f32_e32 v52, v74, v15
	v_mul_f32_e32 v53, v74, v14
	;; [unrolled: 1-line block ×3, first 2 shown]
	s_waitcnt vmcnt(3)
	v_mul_f32_e32 v99, v82, v27
	v_mul_f32_e32 v100, v84, v23
	;; [unrolled: 1-line block ×8, first 2 shown]
	v_fmac_f32_e32 v52, v73, v14
	v_fma_f32 v14, v73, v15, -v53
	v_fmac_f32_e32 v74, v75, v30
	v_fmac_f32_e32 v99, v81, v26
	;; [unrolled: 1-line block ×3, first 2 shown]
	v_fma_f32 v22, v83, v23, -v84
	v_mul_f32_e32 v78, v78, v34
	v_fma_f32 v15, v75, v31, -v76
	v_fmac_f32_e32 v97, v77, v34
	v_fmac_f32_e32 v98, v79, v18
	v_fma_f32 v18, v79, v19, -v80
	v_fma_f32 v19, v81, v27, -v82
	s_waitcnt vmcnt(1)
	v_mul_f32_e32 v34, v17, v90
	v_add_f32_e32 v79, v52, v100
	v_add_f32_e32 v80, v14, v22
	v_sub_f32_e32 v14, v14, v22
	v_add_f32_e32 v22, v74, v99
	v_fma_f32 v30, v77, v35, -v78
	v_mul_f32_e32 v35, v16, v90
	v_add_f32_e32 v81, v15, v19
	v_sub_f32_e32 v15, v15, v19
	v_add_f32_e32 v19, v97, v98
	v_fmac_f32_e32 v34, v16, v89
	v_add_f32_e32 v16, v22, v79
	v_add_f32_e32 v82, v30, v18
	v_sub_f32_e32 v18, v18, v30
	v_fma_f32 v30, v17, v89, -v35
	v_add_f32_e32 v17, v81, v80
	v_add_f32_e32 v16, v19, v16
	v_mul_f32_e32 v26, v86, v29
	v_mul_f32_e32 v23, v86, v28
	;; [unrolled: 1-line block ×5, first 2 shown]
	s_waitcnt vmcnt(0)
	v_mul_f32_e32 v75, v21, v94
	v_mul_f32_e32 v77, v57, v96
	;; [unrolled: 1-line block ×3, first 2 shown]
	v_sub_f32_e32 v52, v52, v100
	v_sub_f32_e32 v74, v74, v99
	;; [unrolled: 1-line block ×3, first 2 shown]
	v_add_f32_e32 v17, v82, v17
	v_add_f32_e32 v12, v12, v16
	v_mul_f32_e32 v27, v88, v33
	v_mul_f32_e32 v76, v20, v94
	v_fmac_f32_e32 v26, v85, v28
	v_fma_f32 v28, v85, v29, -v23
	v_fma_f32 v29, v87, v33, -v31
	v_fmac_f32_e32 v53, v24, v91
	v_fma_f32 v31, v25, v91, -v73
	v_fmac_f32_e32 v75, v20, v93
	v_fmac_f32_e32 v77, v56, v95
	v_fma_f32 v33, v57, v95, -v78
	v_sub_f32_e32 v20, v22, v79
	v_sub_f32_e32 v23, v79, v19
	;; [unrolled: 1-line block ×5, first 2 shown]
	v_add_f32_e32 v35, v83, v74
	v_add_f32_e32 v56, v18, v15
	v_sub_f32_e32 v57, v83, v74
	v_sub_f32_e32 v73, v18, v15
	;; [unrolled: 1-line block ×4, first 2 shown]
	v_add_f32_e32 v13, v13, v17
	v_mov_b32_e32 v79, v12
	v_fmac_f32_e32 v27, v87, v32
	v_fma_f32 v32, v21, v93, -v76
	v_sub_f32_e32 v21, v81, v80
	v_sub_f32_e32 v76, v52, v83
	;; [unrolled: 1-line block ×3, first 2 shown]
	v_add_f32_e32 v19, v35, v52
	v_add_f32_e32 v14, v56, v14
	v_mul_f32_e32 v23, 0x3f4a47b2, v23
	v_mul_f32_e32 v24, 0x3f4a47b2, v24
	;; [unrolled: 1-line block ×8, first 2 shown]
	v_fmac_f32_e32 v79, 0xbf955555, v16
	v_mov_b32_e32 v16, v13
	v_fmac_f32_e32 v16, 0xbf955555, v17
	v_fma_f32 v17, v20, s5, -v35
	v_fma_f32 v35, v21, s5, -v52
	;; [unrolled: 1-line block ×3, first 2 shown]
	v_fmac_f32_e32 v23, 0x3d64c772, v22
	v_fma_f32 v21, v21, s6, -v24
	v_fmac_f32_e32 v24, 0x3d64c772, v25
	v_fma_f32 v22, v74, s4, -v56
	v_fma_f32 v25, v15, s4, -v57
	;; [unrolled: 1-line block ×4, first 2 shown]
	v_fmac_f32_e32 v56, 0xbeae86e6, v76
	v_fmac_f32_e32 v57, 0xbeae86e6, v18
	v_add_f32_e32 v74, v23, v79
	v_add_f32_e32 v76, v24, v16
	;; [unrolled: 1-line block ×6, first 2 shown]
	v_fmac_f32_e32 v22, 0xbee1c552, v19
	v_fmac_f32_e32 v25, 0xbee1c552, v14
	;; [unrolled: 1-line block ×6, first 2 shown]
	v_add_f32_e32 v16, v73, v35
	v_sub_f32_e32 v17, v78, v52
	v_sub_f32_e32 v18, v23, v25
	v_add_f32_e32 v19, v22, v24
	v_add_f32_e32 v20, v25, v23
	v_sub_f32_e32 v21, v24, v22
	v_sub_f32_e32 v22, v35, v73
	v_add_f32_e32 v23, v52, v78
	v_add_f32_e32 v35, v26, v77
	;; [unrolled: 1-line block ×3, first 2 shown]
	v_sub_f32_e32 v28, v28, v33
	v_add_f32_e32 v33, v27, v75
	v_add_f32_e32 v14, v57, v74
	v_sub_f32_e32 v15, v76, v56
	v_sub_f32_e32 v24, v74, v57
	v_add_f32_e32 v25, v56, v76
	v_add_f32_e32 v56, v29, v32
	v_sub_f32_e32 v27, v27, v75
	;; [unrolled: 4-line block ×3, first 2 shown]
	v_sub_f32_e32 v30, v31, v30
	v_add_f32_e32 v31, v33, v35
	v_sub_f32_e32 v26, v26, v77
	v_add_f32_e32 v53, v56, v52
	v_add_f32_e32 v75, v34, v27
	;; [unrolled: 1-line block ×3, first 2 shown]
	v_sub_f32_e32 v73, v33, v35
	v_sub_f32_e32 v35, v35, v32
	;; [unrolled: 1-line block ×7, first 2 shown]
	v_add_f32_e32 v32, v57, v53
	v_add_f32_e32 v53, v75, v26
	;; [unrolled: 1-line block ×3, first 2 shown]
	v_sub_f32_e32 v74, v56, v52
	v_sub_f32_e32 v52, v52, v57
	;; [unrolled: 1-line block ×3, first 2 shown]
	v_add_f32_e32 v76, v30, v29
	v_sub_f32_e32 v29, v29, v28
	v_add_f32_e32 v27, v55, v32
	v_mul_f32_e32 v75, 0x3f08b237, v78
	v_mov_b32_e32 v78, v26
	v_sub_f32_e32 v30, v28, v30
	v_add_f32_e32 v28, v76, v28
	v_mul_f32_e32 v35, 0x3f4a47b2, v35
	v_mul_f32_e32 v52, 0x3f4a47b2, v52
	;; [unrolled: 1-line block ×7, first 2 shown]
	v_fmac_f32_e32 v78, 0xbf955555, v31
	v_mov_b32_e32 v31, v27
	v_fmac_f32_e32 v31, 0xbf955555, v32
	v_fma_f32 v32, v73, s5, -v54
	v_fma_f32 v54, v74, s5, -v55
	;; [unrolled: 1-line block ×3, first 2 shown]
	v_fmac_f32_e32 v35, 0x3d64c772, v33
	v_fma_f32 v33, v74, s6, -v52
	v_fmac_f32_e32 v52, 0x3d64c772, v56
	v_fma_f32 v56, v79, s4, -v57
	;; [unrolled: 2-line block ×4, first 2 shown]
	v_fma_f32 v76, v30, s7, -v77
	v_add_f32_e32 v77, v35, v78
	v_add_f32_e32 v79, v52, v31
	;; [unrolled: 1-line block ×6, first 2 shown]
	v_fmac_f32_e32 v57, 0xbee1c552, v53
	v_fmac_f32_e32 v75, 0xbee1c552, v28
	v_fmac_f32_e32 v56, 0xbee1c552, v53
	v_fmac_f32_e32 v73, 0xbee1c552, v28
	v_fmac_f32_e32 v74, 0xbee1c552, v53
	v_fmac_f32_e32 v76, 0xbee1c552, v28
	v_add_f32_e32 v28, v75, v77
	v_sub_f32_e32 v29, v79, v57
	v_add_f32_e32 v30, v76, v52
	v_sub_f32_e32 v31, v54, v74
	v_sub_f32_e32 v32, v34, v73
	v_add_f32_e32 v33, v56, v35
	ds_write2_b64 v58, v[12:13], v[14:15] offset1:144
	ds_write2_b64 v70, v[16:17], v[18:19] offset0:32 offset1:176
	ds_write2_b64 v71, v[20:21], v[22:23] offset0:64 offset1:208
	ds_write_b64 v58, v[24:25] offset:6912
	ds_write2_b64 v64, v[26:27], v[28:29] offset1:144
	v_add_u32_e32 v12, 0x800, v64
	v_add_f32_e32 v34, v73, v34
	v_sub_f32_e32 v35, v35, v56
	v_sub_f32_e32 v52, v52, v76
	v_add_f32_e32 v53, v74, v54
	ds_write2_b64 v12, v[30:31], v[32:33] offset0:32 offset1:176
	v_add_u32_e32 v12, 0x1000, v64
	v_sub_f32_e32 v54, v77, v75
	v_add_f32_e32 v55, v57, v79
	ds_write2_b64 v12, v[34:35], v[52:53] offset0:64 offset1:208
	ds_write_b64 v64, v[54:55] offset:6912
	s_and_saveexec_b64 s[2:3], s[0:1]
	s_cbranch_execz .LBB0_17
; %bb.16:
	v_subrev_u32_e32 v12, 32, v36
	v_cndmask_b32_e64 v12, v12, v49, s[0:1]
	v_mul_i32_i24_e32 v12, 6, v12
	v_mov_b32_e32 v13, 0
	v_lshlrev_b64 v[12:13], 3, v[12:13]
	v_mov_b32_e32 v14, s9
	v_add_co_u32_e64 v24, s[0:1], s8, v12
	v_addc_co_u32_e64 v25, s[0:1], v14, v13, s[0:1]
	global_load_dwordx4 v[12:15], v[24:25], off offset:1136
	global_load_dwordx4 v[16:19], v[24:25], off offset:1168
	;; [unrolled: 1-line block ×3, first 2 shown]
	s_waitcnt vmcnt(2)
	v_mul_f32_e32 v24, v5, v13
	s_waitcnt vmcnt(1)
	v_mul_f32_e32 v25, v11, v19
	s_waitcnt vmcnt(0)
	v_mul_f32_e32 v26, v3, v23
	v_mul_f32_e32 v27, v1, v21
	v_mul_f32_e32 v28, v7, v15
	;; [unrolled: 1-line block ×9, first 2 shown]
	v_fmac_f32_e32 v24, v4, v12
	v_fmac_f32_e32 v25, v10, v18
	;; [unrolled: 1-line block ×6, first 2 shown]
	v_fma_f32 v0, v11, v18, -v19
	v_fma_f32 v2, v5, v12, -v13
	;; [unrolled: 1-line block ×6, first 2 shown]
	v_sub_f32_e32 v7, v26, v27
	v_sub_f32_e32 v8, v28, v29
	v_add_f32_e32 v9, v2, v0
	v_add_f32_e32 v10, v1, v3
	;; [unrolled: 1-line block ×6, first 2 shown]
	v_sub_f32_e32 v6, v24, v25
	v_sub_f32_e32 v15, v2, v0
	;; [unrolled: 1-line block ×5, first 2 shown]
	v_add_f32_e32 v3, v7, v8
	v_sub_f32_e32 v5, v9, v10
	v_add_f32_e32 v16, v11, v9
	v_sub_f32_e32 v17, v12, v13
	;; [unrolled: 2-line block ×3, first 2 shown]
	v_sub_f32_e32 v7, v10, v11
	v_sub_f32_e32 v18, v13, v14
	v_sub_f32_e32 v20, v15, v0
	v_sub_f32_e32 v21, v0, v4
	v_add_f32_e32 v0, v0, v4
	v_sub_f32_e32 v8, v8, v6
	v_sub_f32_e32 v9, v11, v9
	v_mul_f32_e32 v11, 0x3f08b237, v1
	v_add_f32_e32 v6, v3, v6
	v_mul_f32_e32 v5, 0x3f4a47b2, v5
	v_add_f32_e32 v3, v10, v16
	;; [unrolled: 2-line block ×4, first 2 shown]
	v_mul_f32_e32 v21, 0xbf5ff5aa, v8
	v_mov_b32_e32 v23, v11
	v_mov_b32_e32 v24, v5
	v_add_f32_e32 v1, v51, v3
	v_mov_b32_e32 v25, v10
	v_add_f32_e32 v0, v50, v13
	v_mul_f32_e32 v22, 0x3d64c772, v7
	v_mul_f32_e32 v16, 0x3d64c772, v18
	v_mov_b32_e32 v26, v17
	v_fma_f32 v21, v2, s7, -v21
	v_fmac_f32_e32 v23, 0xbeae86e6, v2
	v_fmac_f32_e32 v24, 0x3d64c772, v7
	v_mov_b32_e32 v7, v1
	v_fmac_f32_e32 v25, 0x3d64c772, v18
	v_mov_b32_e32 v18, v0
	v_sub_f32_e32 v12, v14, v12
	v_sub_f32_e32 v14, v4, v15
	v_fma_f32 v8, v8, s4, -v11
	v_fmac_f32_e32 v26, 0xbeae86e6, v20
	v_fmac_f32_e32 v21, 0xbee1c552, v6
	;; [unrolled: 1-line block ×5, first 2 shown]
	v_fma_f32 v5, v9, s6, -v5
	v_mul_f32_e32 v4, 0xbf5ff5aa, v14
	v_fma_f32 v9, v9, s5, -v22
	v_fmac_f32_e32 v8, 0xbee1c552, v6
	v_fma_f32 v11, v14, s4, -v17
	v_fma_f32 v6, v12, s5, -v16
	v_fmac_f32_e32 v26, 0xbee1c552, v19
	v_add_f32_e32 v13, v24, v7
	v_add_f32_e32 v24, v25, v18
	v_fma_f32 v10, v12, s6, -v10
	v_fma_f32 v15, v20, s7, -v4
	v_add_f32_e32 v9, v9, v7
	v_fmac_f32_e32 v11, 0xbee1c552, v19
	v_add_f32_e32 v12, v6, v18
	v_add_f32_e32 v3, v23, v13
	;; [unrolled: 1-line block ×4, first 2 shown]
	v_fmac_f32_e32 v15, 0xbee1c552, v19
	v_sub_f32_e32 v7, v9, v8
	v_add_f32_e32 v6, v11, v12
	v_add_f32_e32 v9, v8, v9
	v_sub_f32_e32 v8, v12, v11
	v_sub_f32_e32 v13, v13, v23
	v_add_f32_e32 v12, v26, v24
	v_add_u32_e32 v14, 0x200, v58
	v_sub_f32_e32 v4, v10, v15
	v_sub_f32_e32 v11, v25, v21
	v_add_f32_e32 v10, v15, v10
	ds_write2_b64 v14, v[0:1], v[12:13] offset0:48 offset1:192
	v_add_u32_e32 v0, 0xc00, v58
	v_add_f32_e32 v5, v21, v25
	ds_write2_b64 v0, v[10:11], v[8:9] offset0:16 offset1:160
	v_add_u32_e32 v0, 0x1400, v58
	v_sub_f32_e32 v2, v24, v26
	ds_write2_b64 v0, v[6:7], v[4:5] offset0:48 offset1:192
	ds_write_b64 v58, v[2:3] offset:7808
.LBB0_17:
	s_or_b64 exec, exec, s[2:3]
	s_waitcnt lgkmcnt(0)
	; wave barrier
	s_waitcnt lgkmcnt(0)
	ds_read_b64 v[2:3], v58
	s_add_u32 s4, s8, 0x1f70
	s_addc_u32 s5, s9, 0
	v_sub_u32_e32 v4, 0, v37
	v_cmp_ne_u32_e64 s[0:1], 0, v36
                                        ; implicit-def: $vgpr0
                                        ; implicit-def: $vgpr9
                                        ; implicit-def: $vgpr10
	s_and_saveexec_b64 s[2:3], s[0:1]
	s_xor_b64 s[2:3], exec, s[2:3]
	s_cbranch_execz .LBB0_19
; %bb.18:
	v_mov_b32_e32 v37, 0
	v_lshlrev_b64 v[0:1], 3, v[36:37]
	v_mov_b32_e32 v5, s5
	v_add_co_u32_e64 v0, s[0:1], s4, v0
	v_addc_co_u32_e64 v1, s[0:1], v5, v1, s[0:1]
	global_load_dwordx2 v[5:6], v[0:1], off
	ds_read_b64 v[0:1], v4 offset:8064
	s_waitcnt lgkmcnt(0)
	v_add_f32_e32 v7, v0, v2
	v_sub_f32_e32 v0, v2, v0
	v_add_f32_e32 v8, v1, v3
	v_sub_f32_e32 v1, v3, v1
	v_mul_f32_e32 v3, 0.5, v0
	v_mul_f32_e32 v2, 0.5, v8
	;; [unrolled: 1-line block ×3, first 2 shown]
	s_waitcnt vmcnt(0)
	v_mul_f32_e32 v1, v6, v3
	v_fma_f32 v8, v2, v6, v0
	v_fma_f32 v6, v2, v6, -v0
	v_fma_f32 v9, 0.5, v7, v1
	v_fma_f32 v0, v7, 0.5, -v1
	v_fma_f32 v10, -v5, v3, v8
	v_fmac_f32_e32 v9, v5, v2
	v_fma_f32 v0, -v5, v2, v0
	v_fma_f32 v1, -v5, v3, v6
                                        ; implicit-def: $vgpr2_vgpr3
.LBB0_19:
	s_or_saveexec_b64 s[0:1], s[2:3]
	v_sub_u32_e32 v12, 0, v39
	v_sub_u32_e32 v11, 0, v66
	;; [unrolled: 1-line block ×6, first 2 shown]
	s_xor_b64 exec, exec, s[0:1]
	s_cbranch_execz .LBB0_21
; %bb.20:
	v_mov_b32_e32 v10, 0
	ds_read_b32 v1, v10 offset:4036
	s_waitcnt lgkmcnt(1)
	v_add_f32_e32 v9, v2, v3
	v_sub_f32_e32 v0, v2, v3
	s_waitcnt lgkmcnt(0)
	v_xor_b32_e32 v1, 0x80000000, v1
	ds_write_b32 v10, v1 offset:4036
	v_mov_b32_e32 v1, 0
.LBB0_21:
	s_or_b64 exec, exec, s[0:1]
	v_mov_b32_e32 v39, 0
	s_waitcnt lgkmcnt(0)
	v_lshlrev_b64 v[2:3], 3, v[38:39]
	v_mov_b32_e32 v13, s5
	v_add_co_u32_e64 v2, s[0:1], s4, v2
	v_addc_co_u32_e64 v3, s[0:1], v13, v3, s[0:1]
	global_load_dwordx2 v[2:3], v[2:3], off
	v_mov_b32_e32 v50, v39
	v_lshlrev_b64 v[13:14], 3, v[49:50]
	v_mov_b32_e32 v15, s5
	v_add_co_u32_e64 v13, s[0:1], s4, v13
	v_addc_co_u32_e64 v14, s[0:1], v15, v14, s[0:1]
	global_load_dwordx2 v[13:14], v[13:14], off
	v_mov_b32_e32 v49, v39
	;; [unrolled: 6-line block ×3, first 2 shown]
	v_add_u32_e32 v17, v63, v12
	v_add_u32_e32 v18, v45, v11
	v_lshlrev_b64 v[11:12], 3, v[47:48]
	v_mov_b32_e32 v19, s5
	v_add_co_u32_e64 v11, s[0:1], s4, v11
	ds_write2_b32 v58, v9, v10 offset1:1
	ds_write_b64 v4, v[0:1] offset:8064
	v_addc_co_u32_e64 v12, s[0:1], v19, v12, s[0:1]
	ds_read_b64 v[0:1], v64
	ds_read_b64 v[9:10], v4 offset:7616
	global_load_dwordx2 v[11:12], v[11:12], off
	v_mov_b32_e32 v47, v39
	v_mov_b32_e32 v45, v39
	v_add_u32_e32 v8, v62, v8
	s_waitcnt lgkmcnt(0)
	v_add_f32_e32 v19, v0, v9
	v_sub_f32_e32 v0, v0, v9
	v_add_f32_e32 v20, v1, v10
	v_sub_f32_e32 v1, v1, v10
	v_mul_f32_e32 v0, 0.5, v0
	v_mul_f32_e32 v9, 0.5, v20
	v_mul_f32_e32 v1, 0.5, v1
	s_waitcnt vmcnt(3)
	v_mul_f32_e32 v10, v3, v0
	v_fma_f32 v20, v9, v3, v1
	v_fma_f32 v1, v9, v3, -v1
	v_fma_f32 v3, 0.5, v19, v10
	v_fma_f32 v20, -v2, v0, v20
	v_fma_f32 v10, v19, 0.5, -v10
	v_fmac_f32_e32 v3, v2, v9
	v_fma_f32 v1, -v2, v0, v1
	v_fma_f32 v0, -v2, v9, v10
	ds_write2_b32 v64, v3, v20 offset1:1
	ds_write_b64 v4, v[0:1] offset:7616
	ds_read_b64 v[0:1], v72
	ds_read_b64 v[2:3], v4 offset:7168
	v_lshlrev_b64 v[9:10], 3, v[46:47]
	v_mov_b32_e32 v19, s5
	v_add_co_u32_e64 v9, s[0:1], s4, v9
	s_waitcnt lgkmcnt(0)
	v_add_f32_e32 v20, v0, v2
	v_add_f32_e32 v21, v1, v3
	v_sub_f32_e32 v0, v0, v2
	v_sub_f32_e32 v1, v1, v3
	v_mul_f32_e32 v2, 0.5, v21
	v_mul_f32_e32 v0, 0.5, v0
	;; [unrolled: 1-line block ×3, first 2 shown]
	s_waitcnt vmcnt(2)
	v_mul_f32_e32 v3, v14, v0
	v_fma_f32 v21, v2, v14, v1
	v_fma_f32 v1, v2, v14, -v1
	v_fma_f32 v14, 0.5, v20, v3
	v_fma_f32 v21, -v13, v0, v21
	v_fma_f32 v3, v20, 0.5, -v3
	v_fma_f32 v0, -v13, v0, v1
	v_fmac_f32_e32 v14, v13, v2
	ds_write_b32 v72, v21 offset:4
	v_fma_f32 v1, -v13, v2, v3
	ds_write_b32 v4, v0 offset:7172
	ds_write_b32 v72, v14
	ds_write_b32 v4, v1 offset:7168
	ds_read_b64 v[0:1], v17
	ds_read_b64 v[2:3], v4 offset:6720
	v_addc_co_u32_e64 v10, s[0:1], v19, v10, s[0:1]
	global_load_dwordx2 v[9:10], v[9:10], off
	s_waitcnt lgkmcnt(0)
	v_add_f32_e32 v14, v1, v3
	v_sub_f32_e32 v1, v1, v3
	v_add_f32_e32 v13, v0, v2
	v_sub_f32_e32 v0, v0, v2
	v_mul_f32_e32 v2, 0.5, v14
	v_mul_f32_e32 v1, 0.5, v1
	v_mul_f32_e32 v0, 0.5, v0
	s_waitcnt vmcnt(2)
	v_fma_f32 v14, v2, v16, v1
	v_mul_f32_e32 v3, v16, v0
	v_fma_f32 v1, v2, v16, -v1
	v_fma_f32 v14, -v15, v0, v14
	v_fma_f32 v16, 0.5, v13, v3
	v_fma_f32 v3, v13, 0.5, -v3
	v_fma_f32 v0, -v15, v0, v1
	ds_write_b32 v17, v14 offset:4
	v_lshlrev_b64 v[13:14], 3, v[44:45]
	v_fmac_f32_e32 v16, v15, v2
	v_fma_f32 v1, -v15, v2, v3
	ds_write_b32 v4, v0 offset:6724
	ds_write_b32 v17, v16
	ds_write_b32 v4, v1 offset:6720
	ds_read_b64 v[0:1], v18
	ds_read_b64 v[2:3], v4 offset:6272
	v_mov_b32_e32 v15, s5
	v_add_co_u32_e64 v13, s[0:1], s4, v13
	v_addc_co_u32_e64 v14, s[0:1], v15, v14, s[0:1]
	global_load_dwordx2 v[13:14], v[13:14], off
	s_waitcnt lgkmcnt(0)
	v_add_f32_e32 v15, v0, v2
	v_sub_f32_e32 v0, v0, v2
	v_add_f32_e32 v16, v1, v3
	v_sub_f32_e32 v1, v1, v3
	v_mul_f32_e32 v0, 0.5, v0
	v_mul_f32_e32 v16, 0.5, v16
	;; [unrolled: 1-line block ×3, first 2 shown]
	s_waitcnt vmcnt(2)
	v_mul_f32_e32 v2, v12, v0
	v_fma_f32 v3, 0.5, v15, v2
	v_fma_f32 v17, v16, v12, v1
	v_fma_f32 v2, v15, 0.5, -v2
	v_fma_f32 v1, v16, v12, -v1
	v_mov_b32_e32 v44, v39
	v_fmac_f32_e32 v3, v11, v16
	v_fma_f32 v17, -v11, v0, v17
	v_fma_f32 v2, -v11, v16, v2
	;; [unrolled: 1-line block ×3, first 2 shown]
	v_lshlrev_b64 v[0:1], 3, v[43:44]
	v_mov_b32_e32 v12, s5
	v_add_co_u32_e64 v0, s[0:1], s4, v0
	v_addc_co_u32_e64 v1, s[0:1], v12, v1, s[0:1]
	global_load_dwordx2 v[0:1], v[0:1], off
	ds_write_b32 v18, v17 offset:4
	ds_write_b32 v4, v11 offset:6276
	ds_write_b32 v18, v3
	ds_write_b32 v4, v2 offset:6272
	ds_read_b64 v[2:3], v8
	ds_read_b64 v[11:12], v4 offset:5824
	v_mov_b32_e32 v43, v39
	v_mov_b32_e32 v17, s5
	s_waitcnt lgkmcnt(0)
	v_add_f32_e32 v15, v2, v11
	v_add_f32_e32 v16, v3, v12
	v_sub_f32_e32 v2, v2, v11
	v_sub_f32_e32 v3, v3, v12
	v_mul_f32_e32 v11, 0.5, v2
	v_mul_f32_e32 v12, 0.5, v3
	v_lshlrev_b64 v[2:3], 3, v[42:43]
	v_mul_f32_e32 v16, 0.5, v16
	v_add_co_u32_e64 v2, s[0:1], s4, v2
	v_addc_co_u32_e64 v3, s[0:1], v17, v3, s[0:1]
	global_load_dwordx2 v[2:3], v[2:3], off
	s_waitcnt vmcnt(3)
	v_mul_f32_e32 v17, v10, v11
	v_fma_f32 v18, 0.5, v15, v17
	v_fma_f32 v19, v16, v10, v12
	v_fma_f32 v15, v15, 0.5, -v17
	v_fma_f32 v10, v16, v10, -v12
	v_fmac_f32_e32 v18, v9, v16
	v_fma_f32 v19, -v9, v11, v19
	v_fma_f32 v15, -v9, v16, v15
	v_fma_f32 v9, -v9, v11, v10
	ds_write_b32 v8, v19 offset:4
	ds_write_b32 v4, v9 offset:5828
	ds_write_b32 v8, v18
	ds_write_b32 v4, v15 offset:5824
	v_add_u32_e32 v11, v61, v7
	ds_read_b64 v[7:8], v11
	ds_read_b64 v[9:10], v4 offset:5376
	s_waitcnt lgkmcnt(0)
	v_add_f32_e32 v12, v7, v9
	v_sub_f32_e32 v7, v7, v9
	v_add_f32_e32 v15, v8, v10
	v_sub_f32_e32 v8, v8, v10
	v_mul_f32_e32 v7, 0.5, v7
	v_mul_f32_e32 v15, 0.5, v15
	;; [unrolled: 1-line block ×3, first 2 shown]
	s_waitcnt vmcnt(2)
	v_mul_f32_e32 v9, v14, v7
	v_fma_f32 v10, 0.5, v12, v9
	v_fma_f32 v16, v15, v14, v8
	v_fma_f32 v8, v15, v14, -v8
	v_fmac_f32_e32 v10, v13, v15
	v_fma_f32 v16, -v13, v7, v16
	v_fma_f32 v9, v12, 0.5, -v9
	v_fma_f32 v7, -v13, v7, v8
	ds_write_b32 v11, v16 offset:4
	v_fma_f32 v9, -v13, v15, v9
	ds_write_b32 v4, v7 offset:5380
	ds_write_b32 v11, v10
	ds_write_b32 v4, v9 offset:5376
	v_add_u32_e32 v10, v60, v6
	ds_read_b64 v[6:7], v10
	ds_read_b64 v[8:9], v4 offset:4928
	s_waitcnt lgkmcnt(0)
	v_add_f32_e32 v11, v6, v8
	v_sub_f32_e32 v6, v6, v8
	v_add_f32_e32 v12, v7, v9
	v_sub_f32_e32 v7, v7, v9
	v_mul_f32_e32 v6, 0.5, v6
	v_mul_f32_e32 v12, 0.5, v12
	;; [unrolled: 1-line block ×3, first 2 shown]
	s_waitcnt vmcnt(1)
	v_mul_f32_e32 v8, v1, v6
	v_fma_f32 v9, 0.5, v11, v8
	v_fma_f32 v13, v12, v1, v7
	v_fma_f32 v8, v11, 0.5, -v8
	v_fma_f32 v1, v12, v1, -v7
	v_fmac_f32_e32 v9, v0, v12
	v_fma_f32 v13, -v0, v6, v13
	v_fma_f32 v8, -v0, v12, v8
	;; [unrolled: 1-line block ×3, first 2 shown]
	ds_write_b32 v10, v13 offset:4
	ds_write_b32 v4, v0 offset:4932
	ds_write_b32 v10, v9
	ds_write_b32 v4, v8 offset:4928
	v_add_u32_e32 v7, v59, v5
	ds_read_b64 v[0:1], v7
	ds_read_b64 v[5:6], v4 offset:4480
	s_waitcnt lgkmcnt(0)
	v_add_f32_e32 v8, v0, v5
	v_add_f32_e32 v9, v1, v6
	v_sub_f32_e32 v0, v0, v5
	v_sub_f32_e32 v1, v1, v6
	v_mul_f32_e32 v9, 0.5, v9
	v_mul_f32_e32 v0, 0.5, v0
	;; [unrolled: 1-line block ×3, first 2 shown]
	s_waitcnt vmcnt(0)
	v_mul_f32_e32 v5, v3, v0
	v_fma_f32 v10, v9, v3, v1
	v_fma_f32 v1, v9, v3, -v1
	v_fma_f32 v6, 0.5, v8, v5
	v_fma_f32 v10, -v2, v0, v10
	v_fma_f32 v5, v8, 0.5, -v5
	v_fma_f32 v0, -v2, v0, v1
	v_fmac_f32_e32 v6, v2, v9
	ds_write_b32 v7, v10 offset:4
	v_fma_f32 v5, -v2, v9, v5
	ds_write_b32 v4, v0 offset:4484
	ds_write_b32 v7, v6
	ds_write_b32 v4, v5 offset:4480
	s_waitcnt lgkmcnt(0)
	; wave barrier
	s_waitcnt lgkmcnt(0)
	s_and_saveexec_b64 s[0:1], vcc
	s_cbranch_execz .LBB0_24
; %bb.22:
	v_mov_b32_e32 v37, v39
	ds_read2_b64 v[2:5], v58 offset1:56
	v_mov_b32_e32 v0, s13
	v_add_co_u32_e32 v1, vcc, s12, v40
	v_lshlrev_b64 v[10:11], 3, v[36:37]
	v_addc_co_u32_e32 v0, vcc, v0, v41, vcc
	ds_read2_b64 v[6:9], v58 offset0:112 offset1:168
	v_add_co_u32_e32 v14, vcc, v1, v10
	v_addc_co_u32_e32 v15, vcc, v0, v11, vcc
	s_waitcnt lgkmcnt(1)
	global_store_dwordx2 v[14:15], v[2:3], off
	global_store_dwordx2 v[14:15], v[4:5], off offset:448
	s_waitcnt lgkmcnt(0)
	global_store_dwordx2 v[14:15], v[6:7], off offset:896
	v_add_u32_e32 v2, 0x400, v58
	ds_read2_b64 v[2:5], v2 offset0:96 offset1:152
	v_add_u32_e32 v6, 0x800, v58
	ds_read2_b64 v[10:13], v6 offset0:80 offset1:136
	global_store_dwordx2 v[14:15], v[8:9], off offset:1344
	ds_read2_b64 v[6:9], v6 offset0:192 offset1:248
	s_waitcnt lgkmcnt(2)
	global_store_dwordx2 v[14:15], v[2:3], off offset:1792
	global_store_dwordx2 v[14:15], v[4:5], off offset:2240
	s_waitcnt lgkmcnt(1)
	global_store_dwordx2 v[14:15], v[10:11], off offset:2688
	global_store_dwordx2 v[14:15], v[12:13], off offset:3136
	;; [unrolled: 3-line block ×3, first 2 shown]
	v_add_u32_e32 v6, 0x1000, v58
	ds_read2_b64 v[2:5], v6 offset0:48 offset1:104
	s_movk_i32 s0, 0x1000
	ds_read2_b64 v[6:9], v6 offset0:160 offset1:216
	v_add_co_u32_e32 v14, vcc, s0, v14
	v_add_u32_e32 v16, 0x1800, v58
	v_addc_co_u32_e32 v15, vcc, 0, v15, vcc
	ds_read2_b64 v[10:13], v16 offset0:16 offset1:72
	s_waitcnt lgkmcnt(2)
	global_store_dwordx2 v[14:15], v[2:3], off offset:384
	global_store_dwordx2 v[14:15], v[4:5], off offset:832
	s_waitcnt lgkmcnt(1)
	global_store_dwordx2 v[14:15], v[6:7], off offset:1280
	global_store_dwordx2 v[14:15], v[8:9], off offset:1728
	;; [unrolled: 3-line block ×3, first 2 shown]
	v_or_b32_e32 v38, 0x380, v36
	ds_read2_b64 v[2:5], v16 offset0:128 offset1:184
	v_lshlrev_b64 v[6:7], 3, v[38:39]
	v_add_co_u32_e32 v6, vcc, v1, v6
	v_addc_co_u32_e32 v7, vcc, v0, v7, vcc
	v_cmp_eq_u32_e32 vcc, 55, v36
	s_waitcnt lgkmcnt(0)
	global_store_dwordx2 v[6:7], v[2:3], off
	global_store_dwordx2 v[14:15], v[4:5], off offset:3520
	s_and_b64 exec, exec, vcc
	s_cbranch_execz .LBB0_24
; %bb.23:
	v_mov_b32_e32 v2, 0
	ds_read_b64 v[2:3], v2 offset:8064
	v_add_co_u32_e32 v4, vcc, 0x1000, v1
	v_addc_co_u32_e32 v5, vcc, 0, v0, vcc
	s_waitcnt lgkmcnt(0)
	global_store_dwordx2 v[4:5], v[2:3], off offset:3968
.LBB0_24:
	s_endpgm
	.section	.rodata,"a",@progbits
	.p2align	6, 0x0
	.amdhsa_kernel fft_rtc_back_len1008_factors_2_2_2_2_3_3_7_wgs_56_tpt_56_halfLds_sp_ip_CI_unitstride_sbrr_R2C_dirReg
		.amdhsa_group_segment_fixed_size 0
		.amdhsa_private_segment_fixed_size 0
		.amdhsa_kernarg_size 88
		.amdhsa_user_sgpr_count 6
		.amdhsa_user_sgpr_private_segment_buffer 1
		.amdhsa_user_sgpr_dispatch_ptr 0
		.amdhsa_user_sgpr_queue_ptr 0
		.amdhsa_user_sgpr_kernarg_segment_ptr 1
		.amdhsa_user_sgpr_dispatch_id 0
		.amdhsa_user_sgpr_flat_scratch_init 0
		.amdhsa_user_sgpr_private_segment_size 0
		.amdhsa_uses_dynamic_stack 0
		.amdhsa_system_sgpr_private_segment_wavefront_offset 0
		.amdhsa_system_sgpr_workgroup_id_x 1
		.amdhsa_system_sgpr_workgroup_id_y 0
		.amdhsa_system_sgpr_workgroup_id_z 0
		.amdhsa_system_sgpr_workgroup_info 0
		.amdhsa_system_vgpr_workitem_id 0
		.amdhsa_next_free_vgpr 101
		.amdhsa_next_free_sgpr 22
		.amdhsa_reserve_vcc 1
		.amdhsa_reserve_flat_scratch 0
		.amdhsa_float_round_mode_32 0
		.amdhsa_float_round_mode_16_64 0
		.amdhsa_float_denorm_mode_32 3
		.amdhsa_float_denorm_mode_16_64 3
		.amdhsa_dx10_clamp 1
		.amdhsa_ieee_mode 1
		.amdhsa_fp16_overflow 0
		.amdhsa_exception_fp_ieee_invalid_op 0
		.amdhsa_exception_fp_denorm_src 0
		.amdhsa_exception_fp_ieee_div_zero 0
		.amdhsa_exception_fp_ieee_overflow 0
		.amdhsa_exception_fp_ieee_underflow 0
		.amdhsa_exception_fp_ieee_inexact 0
		.amdhsa_exception_int_div_zero 0
	.end_amdhsa_kernel
	.text
.Lfunc_end0:
	.size	fft_rtc_back_len1008_factors_2_2_2_2_3_3_7_wgs_56_tpt_56_halfLds_sp_ip_CI_unitstride_sbrr_R2C_dirReg, .Lfunc_end0-fft_rtc_back_len1008_factors_2_2_2_2_3_3_7_wgs_56_tpt_56_halfLds_sp_ip_CI_unitstride_sbrr_R2C_dirReg
                                        ; -- End function
	.section	.AMDGPU.csdata,"",@progbits
; Kernel info:
; codeLenInByte = 11668
; NumSgprs: 26
; NumVgprs: 101
; ScratchSize: 0
; MemoryBound: 0
; FloatMode: 240
; IeeeMode: 1
; LDSByteSize: 0 bytes/workgroup (compile time only)
; SGPRBlocks: 3
; VGPRBlocks: 25
; NumSGPRsForWavesPerEU: 26
; NumVGPRsForWavesPerEU: 101
; Occupancy: 2
; WaveLimiterHint : 1
; COMPUTE_PGM_RSRC2:SCRATCH_EN: 0
; COMPUTE_PGM_RSRC2:USER_SGPR: 6
; COMPUTE_PGM_RSRC2:TRAP_HANDLER: 0
; COMPUTE_PGM_RSRC2:TGID_X_EN: 1
; COMPUTE_PGM_RSRC2:TGID_Y_EN: 0
; COMPUTE_PGM_RSRC2:TGID_Z_EN: 0
; COMPUTE_PGM_RSRC2:TIDIG_COMP_CNT: 0
	.type	__hip_cuid_ff9b201b513a4971,@object ; @__hip_cuid_ff9b201b513a4971
	.section	.bss,"aw",@nobits
	.globl	__hip_cuid_ff9b201b513a4971
__hip_cuid_ff9b201b513a4971:
	.byte	0                               ; 0x0
	.size	__hip_cuid_ff9b201b513a4971, 1

	.ident	"AMD clang version 19.0.0git (https://github.com/RadeonOpenCompute/llvm-project roc-6.4.0 25133 c7fe45cf4b819c5991fe208aaa96edf142730f1d)"
	.section	".note.GNU-stack","",@progbits
	.addrsig
	.addrsig_sym __hip_cuid_ff9b201b513a4971
	.amdgpu_metadata
---
amdhsa.kernels:
  - .args:
      - .actual_access:  read_only
        .address_space:  global
        .offset:         0
        .size:           8
        .value_kind:     global_buffer
      - .offset:         8
        .size:           8
        .value_kind:     by_value
      - .actual_access:  read_only
        .address_space:  global
        .offset:         16
        .size:           8
        .value_kind:     global_buffer
      - .actual_access:  read_only
        .address_space:  global
        .offset:         24
        .size:           8
        .value_kind:     global_buffer
      - .offset:         32
        .size:           8
        .value_kind:     by_value
      - .actual_access:  read_only
        .address_space:  global
        .offset:         40
        .size:           8
        .value_kind:     global_buffer
      - .actual_access:  read_only
        .address_space:  global
        .offset:         48
        .size:           8
        .value_kind:     global_buffer
      - .offset:         56
        .size:           4
        .value_kind:     by_value
      - .actual_access:  read_only
        .address_space:  global
        .offset:         64
        .size:           8
        .value_kind:     global_buffer
      - .actual_access:  read_only
        .address_space:  global
        .offset:         72
        .size:           8
        .value_kind:     global_buffer
      - .address_space:  global
        .offset:         80
        .size:           8
        .value_kind:     global_buffer
    .group_segment_fixed_size: 0
    .kernarg_segment_align: 8
    .kernarg_segment_size: 88
    .language:       OpenCL C
    .language_version:
      - 2
      - 0
    .max_flat_workgroup_size: 56
    .name:           fft_rtc_back_len1008_factors_2_2_2_2_3_3_7_wgs_56_tpt_56_halfLds_sp_ip_CI_unitstride_sbrr_R2C_dirReg
    .private_segment_fixed_size: 0
    .sgpr_count:     26
    .sgpr_spill_count: 0
    .symbol:         fft_rtc_back_len1008_factors_2_2_2_2_3_3_7_wgs_56_tpt_56_halfLds_sp_ip_CI_unitstride_sbrr_R2C_dirReg.kd
    .uniform_work_group_size: 1
    .uses_dynamic_stack: false
    .vgpr_count:     101
    .vgpr_spill_count: 0
    .wavefront_size: 64
amdhsa.target:   amdgcn-amd-amdhsa--gfx906
amdhsa.version:
  - 1
  - 2
...

	.end_amdgpu_metadata
